;; amdgpu-corpus repo=ROCm/aiter kind=harvested arch=n/a opt=n/a

/root/src/amdgpu-assembly/repos/ROCm__aiter/hsa/gfx950/fmoe/silu/fmoe_bf16_blockscaleFp8_g1u1_vs_silu_1tg_pf2_16x128.co:	file format elf64-amdgpu

Disassembly of section .text:

0000000000002e00 <_ZN5aiter47fmoe_bf16_blockscaleFp8_g1u1_vs_pf2_silu_16x128E>:
	s_and_b32 s1, s1, 0xffff                                   // 000000002E00: 8601FF01 0000FFFF
	s_load_dwordx2 s[8:9], s[0:1], 0x0                         // 000000002E08: C0060200 00000000
	s_load_dwordx2 s[20:21], s[0:1], 0x10                      // 000000002E10: C0060500 00000010
	s_load_dwordx2 s[24:25], s[0:1], 0x20                      // 000000002E18: C0060600 00000020
	s_load_dwordx2 s[50:51], s[0:1], 0x30                      // 000000002E20: C0060C80 00000030
	s_load_dwordx2 s[12:13], s[0:1], 0x40                      // 000000002E28: C0060300 00000040
	s_load_dwordx2 s[28:29], s[0:1], 0x50                      // 000000002E30: C0060700 00000050
	s_load_dwordx2 s[32:33], s[0:1], 0x60                      // 000000002E38: C0060800 00000060
	s_load_dwordx2 s[16:17], s[0:1], 0x70                      // 000000002E40: C0060400 00000070
	s_load_dwordx2 s[36:37], s[0:1], 0x80                      // 000000002E48: C0060900 00000080
	s_load_dwordx2 s[44:45], s[0:1], 0x90                      // 000000002E50: C0060B00 00000090
	s_load_dwordx2 s[40:41], s[0:1], 0xa0                      // 000000002E58: C0060A00 000000A0
	s_load_dwordx2 s[46:47], s[0:1], 0xb0                      // 000000002E60: C0060B80 000000B0
	s_load_dword s64, s[0:1], 0xc0                             // 000000002E68: C0021000 000000C0
	s_load_dword s65, s[0:1], 0xd0                             // 000000002E70: C0021040 000000D0
	s_load_dword s66, s[0:1], 0xe0                             // 000000002E78: C0021080 000000E0
	s_load_dword s67, s[0:1], 0xf0                             // 000000002E80: C00210C0 000000F0
	s_load_dword s68, s[0:1], 0x100                            // 000000002E88: C0021100 00000100
	s_load_dword s69, s[0:1], 0x110                            // 000000002E90: C0021140 00000110
	s_load_dword s70, s[0:1], 0x120                            // 000000002E98: C0021180 00000120
	s_load_dword s71, s[0:1], 0x130                            // 000000002EA0: C00211C0 00000130
	s_load_dword s72, s[0:1], 0x140                            // 000000002EA8: C0021200 00000140
	s_load_dword s73, s[0:1], 0x150                            // 000000002EB0: C0021240 00000150
	s_load_dword s74, s[0:1], 0x160                            // 000000002EB8: C0021280 00000160
	s_load_dword s75, s[0:1], 0x170                            // 000000002EC0: C00212C0 00000170
	s_load_dword s76, s[0:1], 0x180                            // 000000002EC8: C0021300 00000180
	v_lshrrev_b32_e32 v1, 10, v0                               // 000000002ED0: 2002008A
	v_lshrrev_b32_e32 v2, 10, v1                               // 000000002ED4: 2004028A
	v_and_b32_e32 v2, 0x3ff, v2                                // 000000002ED8: 260404FF 000003FF
	v_and_b32_e32 v1, 0x3ff, v1                                // 000000002EE0: 260202FF 000003FF
	v_and_b32_e32 v0, 0x3ff, v0                                // 000000002EE8: 260000FF 000003FF
	v_lshrrev_b32_e32 v3, 6, v0                                // 000000002EF0: 20060086
	v_and_b32_e32 v0, 63, v0                                   // 000000002EF4: 260000BF
	s_mov_b32 s2, s2                                           // 000000002EF8: BE820002
	s_mov_b32 s3, s3                                           // 000000002EFC: BE830003
	s_mov_b32 s4, s4                                           // 000000002F00: BE840004
	v_readfirstlane_b32 s7, v3                                 // 000000002F04: 7E0E0503
	s_waitcnt lgkmcnt(0)                                       // 000000002F08: BF8CC07F
	s_and_b32 s51, s51, 0xffff                                 // 000000002F0C: 8633FF33 0000FFFF
	s_load_dword s50, s[50:51], 0x0                            // 000000002F14: C0020C99 00000000
	s_and_b32 s45, s45, 0xffff                                 // 000000002F1C: 862DFF2D 0000FFFF
	s_and_b32 s47, s47, 0xffff                                 // 000000002F24: 862FFF2F 0000FFFF
	s_and_b32 s9, s9, 0xffff                                   // 000000002F2C: 8609FF09 0000FFFF
	s_mul_i32 s60, s66, s68                                    // 000000002F34: 923C4442
	s_mul_i32 s61, s66, 4                                      // 000000002F38: 923D8442
	s_mov_b32 s22, s60                                         // 000000002F3C: BE96003C
	s_mov_b32 s26, -16                                         // 000000002F40: BE9A00D0
	s_mov_b32 s14, -16                                         // 000000002F44: BE8E00D0
	s_mov_b32 s42, -16                                         // 000000002F48: BEAA00D0
	s_mov_b32 s30, -16                                         // 000000002F4C: BE9E00D0
	s_mov_b32 s34, -16                                         // 000000002F50: BEA200D0
	s_mov_b32 s38, -16                                         // 000000002F54: BEA600D0
	s_mov_b32 s18, -16                                         // 000000002F58: BE9200D0
	s_mul_i32 s60, s66, s71                                    // 000000002F5C: 923C4742
	s_mov_b32 s10, s60                                         // 000000002F60: BE8A003C
	s_mov_b32 s23, 0x20000                                     // 000000002F64: BE9700FF 00020000
	s_mov_b32 s27, 0x20000                                     // 000000002F6C: BE9B00FF 00020000
	s_mov_b32 s15, 0x20000                                     // 000000002F74: BE8F00FF 00020000
	s_mov_b32 s43, 0x20000                                     // 000000002F7C: BEAB00FF 00020000
	s_mov_b32 s31, 0x20000                                     // 000000002F84: BE9F00FF 00020000
	s_mov_b32 s35, 0x20000                                     // 000000002F8C: BEA300FF 00020000
	s_mov_b32 s39, 0x20000                                     // 000000002F94: BEA700FF 00020000
	s_mov_b32 s19, 0x20000                                     // 000000002F9C: BE9300FF 00020000
	s_mov_b32 s11, 0x20000                                     // 000000002FA4: BE8B00FF 00020000
	s_and_b32 s21, s21, 0xffff                                 // 000000002FAC: 8615FF15 0000FFFF
	s_and_b32 s25, s25, 0xffff                                 // 000000002FB4: 8619FF19 0000FFFF
	s_and_b32 s13, s13, 0xffff                                 // 000000002FBC: 860DFF0D 0000FFFF
	s_and_b32 s41, s41, 0xffff                                 // 000000002FC4: 8629FF29 0000FFFF
	s_and_b32 s29, s29, 0xffff                                 // 000000002FCC: 861DFF1D 0000FFFF
	s_and_b32 s33, s33, 0xffff                                 // 000000002FD4: 8621FF21 0000FFFF
	s_and_b32 s37, s37, 0xffff                                 // 000000002FDC: 8625FF25 0000FFFF
	s_and_b32 s17, s17, 0xffff                                 // 000000002FE4: 8611FF11 0000FFFF
	s_or_b32 s21, s21, 0x40000                                 // 000000002FEC: 8715FF15 00040000
	s_or_b32 s25, s25, 0x40000                                 // 000000002FF4: 8719FF19 00040000
	s_or_b32 s13, s13, 0x40000                                 // 000000002FFC: 870DFF0D 00040000
	s_or_b32 s41, s41, 0x40000                                 // 000000003004: 8729FF29 00040000
	s_or_b32 s29, s29, 0x40000                                 // 00000000300C: 871DFF1D 00040000
	s_or_b32 s33, s33, 0x40000                                 // 000000003014: 8721FF21 00040000
	s_or_b32 s37, s37, 0x40000                                 // 00000000301C: 8725FF25 00040000
	s_or_b32 s17, s17, 0x40000                                 // 000000003024: 8711FF11 00040000
	v_accvgpr_write_b32 a191, 0                                // 00000000302C: D3D940BF 18000080
	v_mov_b32_e32 v159, 0                                      // 000000003034: 7F3E0280
	s_waitcnt lgkmcnt(0)                                       // 000000003038: BF8CC07F
	s_mul_i32 s60, s3, 16                                      // 00000000303C: 923C9003
	s_cmp_lt_i32 s60, s50                                      // 000000003040: BF04323C
	s_cbranch_scc0 label_10B5                                  // 000000003044: BF841023
	s_mov_b32 s80, 0                                           // 000000003048: BED00080
	s_mov_b32 s81, s64                                         // 00000000304C: BED10040
	s_mul_i32 s60, s3, 4                                       // 000000003050: 923C8403
	s_add_u32 s46, s60, s46                                    // 000000003054: 802E2E3C
	s_addc_u32 s47, 0, s47                                     // 000000003058: 822F2F80
	s_load_dword s5, s[46:47], 0x0                             // 00000000305C: C0020157 00000000
	s_mul_i32 s60, s3, 16                                      // 000000003064: 923C9003
	s_mul_i32 s60, 4, s60                                      // 000000003068: 923C3C84
	v_and_b32_e32 v46, 15, v0                                  // 00000000306C: 265C008F
	v_lshlrev_b32_e32 v46, 2, v46                              // 000000003070: 245C5C82
	v_add_u32_e32 v46, s60, v46                                // 000000003074: 685C5C3C
	v_mov_b32_e32 v47, 0                                       // 000000003078: 7E5E0280
	global_load_dword v7, v46, s[44:45]                        // 00000000307C: DC508000 072C002E
	s_mul_i32 s60, s3, 16                                      // 000000003084: 923C9003
	s_lshr_b32 s61, s7, 1                                      // 000000003088: 8F3D8107
	s_mul_i32 s61, s61, 8                                      // 00000000308C: 923D883D
	s_add_u32 s60, s61, s60                                    // 000000003090: 803C3C3D
	s_and_b32 s61, s7, 1                                       // 000000003094: 863D8107
	s_mul_i32 s61, s61, 2                                      // 000000003098: 923D823D
	s_add_u32 s60, s61, s60                                    // 00000000309C: 803C3C3D
	s_mul_i32 s60, 4, s60                                      // 0000000030A0: 923C3C84
	s_add_u32 s44, s60, s44                                    // 0000000030A4: 802C2C3C
	s_addc_u32 s45, 0, s45                                     // 0000000030A8: 822D2D80
	s_load_dword s82, s[44:45], 0x0                            // 0000000030AC: C0021496 00000000
	s_load_dword s83, s[44:45], 0x4                            // 0000000030B4: C00214D6 00000004
	s_load_dword s84, s[44:45], 0x10                           // 0000000030BC: C0021516 00000010
	s_load_dword s85, s[44:45], 0x14                           // 0000000030C4: C0021556 00000014
	s_waitcnt lgkmcnt(0)                                       // 0000000030CC: BF8CC07F
	s_and_b32 s82, s82, 0xffffff                               // 0000000030D0: 8652FF52 00FFFFFF
	s_mul_i32 s62, s82, s68                                    // 0000000030D8: 923E4452
	s_lshl_b32 s60, 0xff, 0                                    // 0000000030DC: 8E3C80FF 000000FF
	s_mov_b32 s61, 0                                           // 0000000030E4: BEBD0080
	s_lshl_b32 s61, 0xff, 0                                    // 0000000030E8: 8E3D80FF 000000FF
	s_mov_b64 exec, s[60:61]                                   // 0000000030F0: BEFE013C
	v_mov_b32_e32 v34, s62                                     // 0000000030F4: 7E44023E
	s_and_b32 s83, s83, 0xffffff                               // 0000000030F8: 8653FF53 00FFFFFF
	s_mul_i32 s62, s83, s68                                    // 000000003100: 923E4453
	s_lshl_b32 s60, 0xff, 8                                    // 000000003104: 8E3C88FF 000000FF
	s_lshl_b32 s61, 0xff, 8                                    // 00000000310C: 8E3D88FF 000000FF
	s_mov_b64 exec, s[60:61]                                   // 000000003114: BEFE013C
	v_mov_b32_e32 v34, s62                                     // 000000003118: 7E44023E
	s_and_b32 s84, s84, 0xffffff                               // 00000000311C: 8654FF54 00FFFFFF
	s_mul_i32 s62, s84, s68                                    // 000000003124: 923E4454
	s_lshl_b32 s60, 0xff, 16                                   // 000000003128: 8E3C90FF 000000FF
	s_lshl_b32 s61, 0xff, 16                                   // 000000003130: 8E3D90FF 000000FF
	s_mov_b64 exec, s[60:61]                                   // 000000003138: BEFE013C
	v_mov_b32_e32 v34, s62                                     // 00000000313C: 7E44023E
	s_and_b32 s85, s85, 0xffffff                               // 000000003140: 8655FF55 00FFFFFF
	s_mul_i32 s62, s85, s68                                    // 000000003148: 923E4455
	s_lshl_b32 s60, 0xff, 24                                   // 00000000314C: 8E3C98FF 000000FF
	s_lshl_b32 s61, 0xff, 24                                   // 000000003154: 8E3D98FF 000000FF
	s_mov_b64 exec, s[60:61]                                   // 00000000315C: BEFE013C
	v_mov_b32_e32 v34, s62                                     // 000000003160: 7E44023E
	s_mov_b32 s60, -1                                          // 000000003164: BEBC00C1
	s_mov_b32 s61, -1                                          // 000000003168: BEBD00C1
	s_mov_b64 exec, s[60:61]                                   // 00000000316C: BEFE013C
	v_and_b32_e64 v46, v0, 7                                   // 000000003170: D113002E 00010F00
	v_lshlrev_b32_e32 v46, 4, v46                              // 000000003178: 245C5C84
	v_add_u32_e32 v34, v34, v46                                // 00000000317C: 68445D22
	s_mov_b32 s62, 0x80                                        // 000000003180: BEBE00FF 00000080
	s_mov_b32 s60, 0                                           // 000000003188: BEBC0080
	s_mov_b32 s61, -1                                          // 00000000318C: BEBD00C1
	s_mov_b64 exec, s[60:61]                                   // 000000003190: BEFE013C
	v_add_u32_e64 v34, v34, s62                                // 000000003194: D1340022 00007D22
	s_mov_b64 exec, -1                                         // 00000000319C: BEFE01C1
	v_lshlrev_b32_e32 v46, 2, v0                               // 0000000031A0: 245C0082
	s_mul_i32 s60, s82, s71                                    // 0000000031A4: 923C4752
	v_add_u32_e64 v80, v46, s60                                // 0000000031A8: D1340050 0000792E
	v_mov_b32_e32 v81, 0                                       // 0000000031B0: 7EA20280
	s_mul_i32 s60, s83, s71                                    // 0000000031B4: 923C4753
	v_add_u32_e64 v82, v46, s60                                // 0000000031B8: D1340052 0000792E
	v_mov_b32_e32 v83, 0                                       // 0000000031C0: 7EA60280
	s_mul_i32 s60, s84, s71                                    // 0000000031C4: 923C4754
	v_add_u32_e64 v84, v46, s60                                // 0000000031C8: D1340054 0000792E
	v_mov_b32_e32 v85, 0                                       // 0000000031D0: 7EAA0280
	s_mul_i32 s60, s85, s71                                    // 0000000031D4: 923C4755
	v_add_u32_e64 v86, v46, s60                                // 0000000031D8: D1340056 0000792E
	v_mov_b32_e32 v87, 0                                       // 0000000031E0: 7EAE0280
	s_mul_i32 s60, s7, 0x420                                   // 0000000031E4: 923CFF07 00000420
	s_add_u32 s50, 0, s60                                      // 0000000031EC: 80323C80
	s_add_u32 s51, 0x1500, s50                                 // 0000000031F0: 803332FF 00001500
	s_add_u32 s52, 0x1500, s51                                 // 0000000031F8: 803433FF 00001500
	v_and_b32_e32 v46, 15, v0                                  // 000000003200: 265C008F
	v_lshrrev_b32_e32 v47, 3, v46                              // 000000003204: 205E5C83
	v_mul_lo_u32 v47, 2, v47                                   // 000000003208: D285002F 00025E82
	v_and_b32_e32 v46, 3, v0                                   // 000000003210: 265C0083
	v_lshrrev_b32_e32 v48, 1, v46                              // 000000003214: 20605C81
	v_add_u32_e32 v46, v47, v48                                // 000000003218: 685C612F
	v_mul_i32_i24_e32 v2, 0x420, v46                           // 00000000321C: 0C045CFF 00000420
	v_and_b32_e32 v46, 7, v0                                   // 000000003224: 265C0087
	v_lshrrev_b32_e32 v47, 2, v46                              // 000000003228: 205E5C82
	v_mul_i32_i24_e32 v47, 0x100, v47                          // 00000000322C: 0C5E5EFF 00000100
	v_and_b32_e32 v46, 1, v0                                   // 000000003234: 265C0081
	v_mul_i32_i24_e32 v48, 0x80, v46                           // 000000003238: 0C605CFF 00000080
	v_add_u32_e32 v2, v47, v2                                  // 000000003240: 6804052F
	v_add_u32_e32 v2, v48, v2                                  // 000000003244: 68040530
	v_lshrrev_b32_e32 v46, 4, v0                               // 000000003248: 205C0084
	v_mul_lo_u32 v46, 16, v46                                  // 00000000324C: D285002E 00025C90
	v_add_u32_e32 v2, v46, v2                                  // 000000003254: 6804052E
	s_mul_i32 s60, s2, 0x80                                    // 000000003258: 923CFF02 00000080
	s_mul_i32 s60, s60, s69                                    // 000000003260: 923C453C
	s_mul_i32 s61, s5, s72                                     // 000000003264: 923D4805
	s_add_u32 s60, s61, s60                                    // 000000003268: 803C3C3D
	s_add_u32 s24, s60, s24                                    // 00000000326C: 8018183C
	s_addc_u32 s25, 0, s25                                     // 000000003270: 82191980
	s_mul_i32 s60, s7, 16                                      // 000000003274: 923C9007
	s_mul_i32 s60, s60, s69                                    // 000000003278: 923C453C
	v_lshlrev_b32_e32 v36, 4, v0                               // 00000000327C: 24480084
	v_add_u32_e32 v36, s60, v36                                // 000000003280: 6848483C
	s_mul_i32 s60, 64, s69                                     // 000000003284: 923C45C0
	v_add_u32_e32 v37, s60, v36                                // 000000003288: 684A483C
	s_mov_b32 s92, s24                                         // 00000000328C: BEDC0018
	s_mov_b32 s93, s25                                         // 000000003290: BEDD0019
	s_mov_b32 s94, s26                                         // 000000003294: BEDE001A
	s_mov_b32 s95, s27                                         // 000000003298: BEDF001B
	s_mul_i32 s60, s69, s65                                    // 00000000329C: 923C4145
	s_add_u32 s92, s60, s92                                    // 0000000032A0: 805C5C3C
	s_addc_u32 s93, 0, s93                                     // 0000000032A4: 825D5D80
	s_mul_i32 s60, s2, 0x800                                   // 0000000032A8: 923CFF02 00000800
	s_mul_i32 s61, s5, s73                                     // 0000000032B0: 923D4905
	s_add_u32 s60, s61, s60                                    // 0000000032B4: 803C3C3D
	s_add_u32 s12, s60, s12                                    // 0000000032B8: 800C0C3C
	s_addc_u32 s13, 0, s13                                     // 0000000032BC: 820D0D80
	s_mul_i32 s60, s7, 16                                      // 0000000032C0: 923C9007
	s_mul_i32 s60, s60, s70                                    // 0000000032C4: 923C463C
	v_lshlrev_b32_e32 v38, 4, v0                               // 0000000032C8: 244C0084
	v_add_u32_e32 v38, s60, v38                                // 0000000032CC: 684C4C3C
	s_mul_i32 s60, 64, s70                                     // 0000000032D0: 923C46C0
	v_add_u32_e32 v39, s60, v38                                // 0000000032D4: 684E4C3C
	v_add_u32_e32 v40, s60, v39                                // 0000000032D8: 68504E3C
	v_add_u32_e32 v41, s60, v40                                // 0000000032DC: 6852503C
	s_mul_i32 s60, s70, 0x100                                  // 0000000032E0: 923CFF46 00000100
	s_mov_b32 s78, 0x800                                       // 0000000032E8: BECE00FF 00000800
	s_mul_i32 s61, s78, 0                                      // 0000000032F0: 923D804E
	s_sub_u32 s56, s60, s61                                    // 0000000032F4: 80B83D3C
	s_mul_i32 s60, s3, 16                                      // 0000000032F8: 923C9003
	s_mul_i32 s60, 4, s60                                      // 0000000032FC: 923C3C84
	s_add_u32 s40, s60, s40                                    // 000000003300: 8028283C
	s_addc_u32 s41, 0, s41                                     // 000000003304: 82292980
	v_and_b32_e32 v46, 15, v0                                  // 000000003308: 265C008F
	v_lshlrev_b32_e32 v9, 2, v46                               // 00000000330C: 24125C82
	v_add_u32_e32 v10, 64, v9                                  // 000000003310: 681412C0
	s_lshr_b32 s60, s64, 7                                     // 000000003314: 8F3C8740
	s_mul_i32 s61, s60, 4                                      // 000000003318: 923D843C
	v_and_b32_e64 v11, v0, 0                                   // 00000000331C: D113000B 00010100
	v_mul_lo_u32 v11, v11, s61                                 // 000000003324: D285000B 00007B0B
	v_and_b32_e64 v46, v0, 3                                   // 00000000332C: D113002E 00010700
	v_lshrrev_b32_e32 v46, 1, v46                              // 000000003334: 205C5C81
	v_mul_lo_u32 v46, 4, v46                                   // 000000003338: D285002E 00025C84
	v_add_u32_e32 v11, v11, v46                                // 000000003340: 68165D0B
	s_lshr_b32 s60, s65, 7                                     // 000000003344: 8F3C8741
	s_mul_i32 s60, s60, s61                                    // 000000003348: 923C3D3C
	v_add_u32_e64 v13, v11, s60                                // 00000000334C: D134000D 0000790B
	s_mov_b32 s4, 8                                            // 000000003354: BE840088
	s_mul_i32 s60, s2, 1                                       // 000000003358: 923C8102
	s_mul_i32 s60, s60, s61                                    // 00000000335C: 923C3D3C
	s_mul_i32 s61, s5, s74                                     // 000000003360: 923D4A05
	s_add_u32 s61, s61, s60                                    // 000000003364: 803D3C3D
	s_add_u32 s32, s61, s32                                    // 000000003368: 8020203D
	s_addc_u32 s33, 0, s33                                     // 00000000336C: 82212180
	s_lshr_b32 s60, s65, 7                                     // 000000003370: 8F3C8741
	s_mul_i32 s61, s60, 4                                      // 000000003374: 923D843C
	s_mul_i32 s60, s2, 1                                       // 000000003378: 923C8102
	s_mul_i32 s60, s60, 4                                      // 00000000337C: 923C843C
	v_and_b32_e64 v6, v0, 1                                    // 000000003380: D1130006 00010300
	v_mul_lo_u32 v6, v6, s61                                   // 000000003388: D2850006 00007B06
	v_and_b32_e64 v46, v0, 1                                   // 000000003390: D113002E 00010300
	v_lshrrev_b32_e32 v46, 1, v46                              // 000000003398: 205C5C81
	v_mul_lo_u32 v46, 4, v46                                   // 00000000339C: D285002E 00025C84
	v_add_i32 v6, v6, v46                                      // 0000000033A4: D29C0006 00025D06
	v_add_i32 v6, v6, s60                                      // 0000000033AC: D29C0006 00007906
	s_mul_i32 s60, s5, s75                                     // 0000000033B4: 923C4B05
	s_add_u32 s16, s60, s16                                    // 0000000033B8: 8010103C
	s_addc_u32 s17, 0, s17                                     // 0000000033BC: 82111180
	s_mov_b32 s57, 0x100                                       // 0000000033C0: BEB900FF 00000100
	s_mov_b32 s58, 0x1000                                      // 0000000033C8: BEBA00FF 00001000
	s_mul_i32 s79, 2, s61                                      // 0000000033D0: 924F3D82
	s_mov_b32 s59, 0                                           // 0000000033D4: BEBB0080
	s_mov_b32 s90, s58                                         // 0000000033D8: BEDA003A
	s_mov_b32 s53, 0x7060302                                   // 0000000033DC: BEB500FF 07060302
	s_mov_b32 s54, 0x400                                       // 0000000033E4: BEB600FF 00000400
	s_mov_b32 s55, 0x40100                                     // 0000000033EC: BEB700FF 00040100
	s_mov_b32 s63, 0x4020100                                   // 0000000033F4: BEBF00FF 04020100
	s_mov_b32 s6, 0x3fb8aa3b                                   // 0000000033FC: BE8600FF 3FB8AA3B
	s_mov_b32 s77, 0xbd92220c                                  // 000000003404: BECD00FF BD92220C
	s_mov_b32 m0, s50                                          // 00000000340C: BEFC0032
	v_mov_b32_e32 v1, 0xbfcc4231                               // 000000003410: 7E0202FF BFCC4231
	v_mov_b32_e32 v43, 0xffff0000                              // 000000003418: 7E5602FF FFFF0000
	v_mov_b32_e32 v44, 0x7fff0000                              // 000000003420: 7E5802FF 7FFF0000
	v_mov_b32_e32 v45, 0x7fff                                  // 000000003428: 7E5A02FF 00007FFF
	s_waitcnt vmcnt(0) expcnt(0) lgkmcnt(0)                    // 000000003430: BF8C0000
	v_and_b32_e32 v7, 0xffffff, v7                             // 000000003434: 260E0EFF 00FFFFFF
	v_and_b32_e32 v8, 0xffffff, v8                             // 00000000343C: 261010FF 00FFFFFF
	v_lshlrev_b32_e32 v7, 2, v7                                // 000000003444: 240E0E82
	v_lshlrev_b32_e32 v8, 2, v8                                // 000000003448: 24101082
	s_and_b32 s60, s7, 1                                       // 00000000344C: 863C8107
	s_lshl_b32 s3, s66, 2                                      // 000000003450: 8E038242
	s_mul_i32 s60, s60, s3                                     // 000000003454: 923C033C
	s_add_u32 s28, s28, s60                                    // 000000003458: 801C3C1C
	s_addc_u32 s29, 0, s29                                     // 00000000345C: 821D1D80
	s_mov_b32 s30, s3                                          // 000000003460: BE9E0003
	s_lshl_b32 s3, s3, 1                                       // 000000003464: 8E038103
	s_lshr_b32 s61, s7, 1                                      // 000000003468: 8F3D8107
	s_cmp_eq_u32 s61, 1                                        // 00000000346C: BF06813D
	s_cselect_b32 s60, 0, 1                                    // 000000003470: 853C8180
	v_mul_lo_u32 v46, v7, s60                                  // 000000003474: D285002E 00007907
	v_mul_lo_u32 v47, v8, s61                                  // 00000000347C: D285002F 00007B08
	v_add_u32_e32 v46, v46, v47                                // 000000003484: 685C5F2E
	v_mov_b32_e32 v7, v46                                      // 000000003488: 7E0E032E
	s_mul_i32 s60, s7, 0x100                                   // 00000000348C: 923CFF07 00000100
	s_sub_u32 s61, 4, s7                                       // 000000003494: 80BD0784
	s_mul_i32 s61, s61, 0x420                                  // 000000003498: 923DFF3D 00000420
	s_add_u32 s76, s60, s61                                    // 0000000034A0: 804C3D3C
	s_add_u32 s76, 0x80, s76                                   // 0000000034A4: 804C4CFF 00000080
	v_lshlrev_b32_e32 v3, 2, v0                                // 0000000034AC: 24060082
	buffer_load_dword v27, v9, s[40:43], 0 offen               // 0000000034B0: E0501000 800A1B09
	buffer_load_dword v28, v10, s[40:43], 0 offen              // 0000000034B8: E0501000 800A1C0A
	buffer_load_dwordx4 v34, s[20:23], 0 offen lds             // 0000000034C0: E05D1000 80050022
	s_add_u32 m0, m0, s76                                      // 0000000034C8: 807C4C7C
	buffer_load_dword v7, s[28:31], 0 offen lds                // 0000000034CC: E0511000 80070007
	s_add_u32 m0, 0, s51                                       // 0000000034D4: 807C3380
	s_add_u32 s20, s57, s20                                    // 0000000034D8: 80141439
	s_addc_u32 s21, 0, s21                                     // 0000000034DC: 82151580
	s_add_u32 s28, s3, s28                                     // 0000000034E0: 801C1C03
	s_addc_u32 s29, 0, s29                                     // 0000000034E4: 821D1D80
	buffer_load_dword v21, v11, s[32:35], 0 offen              // 0000000034E8: E0501000 8008150B
	buffer_load_dword v24, v13, s[32:35], 0 offen              // 0000000034F0: E0501000 8008180D
	s_add_u32 s60, 0x100, s80                                  // 0000000034F8: 803C50FF 00000100
	s_cmp_lt_u32 s60, s81                                      // 000000003500: BF0A513C
	s_cselect_b32 s4, s4, 0                                    // 000000003504: 85048004
	s_add_u32 s32, s4, s32                                     // 000000003508: 80202004
	s_addc_u32 s33, 0, s33                                     // 00000000350C: 82212180
	buffer_load_dwordx4 a[0:3], v36, s[24:27], 0 offen         // 000000003510: E05C1000 80860024
	buffer_load_dwordx4 a[4:7], v36, s[24:27], 0 offen offset:1024// 000000003518: E05C1400 80860424
	buffer_load_dwordx4 a[8:11], v37, s[24:27], 0 offen        // 000000003520: E05C1000 80860825
	buffer_load_dwordx4 a[12:15], v37, s[24:27], 0 offen offset:1024// 000000003528: E05C1400 80860C25
	buffer_load_dwordx4 a[16:19], v36, s[24:27], 0 offen offset:2048// 000000003530: E05C1800 80861024
	buffer_load_dwordx4 a[20:23], v36, s[24:27], 0 offen offset:3072// 000000003538: E05C1C00 80861424
	buffer_load_dwordx4 a[24:27], v37, s[24:27], 0 offen offset:2048// 000000003540: E05C1800 80861825
	buffer_load_dwordx4 a[28:31], v37, s[24:27], 0 offen offset:3072// 000000003548: E05C1C00 80861C25
	buffer_load_dwordx4 a[32:35], v36, s[92:95], 0 offen       // 000000003550: E05C1000 80972024
	buffer_load_dwordx4 a[36:39], v36, s[92:95], 0 offen offset:1024// 000000003558: E05C1400 80972424
	buffer_load_dwordx4 a[40:43], v37, s[92:95], 0 offen       // 000000003560: E05C1000 80972825
	buffer_load_dwordx4 a[44:47], v37, s[92:95], 0 offen offset:1024// 000000003568: E05C1400 80972C25
	buffer_load_dwordx4 a[48:51], v36, s[92:95], 0 offen offset:2048// 000000003570: E05C1800 80973024
	buffer_load_dwordx4 a[52:55], v36, s[92:95], 0 offen offset:3072// 000000003578: E05C1C00 80973424
	buffer_load_dwordx4 a[56:59], v37, s[92:95], 0 offen offset:2048// 000000003580: E05C1800 80973825
	buffer_load_dwordx4 a[60:63], v37, s[92:95], 0 offen offset:3072// 000000003588: E05C1C00 80973C25
	s_add_u32 s24, s58, s24                                    // 000000003590: 8018183A
	s_addc_u32 s25, 0, s25                                     // 000000003594: 82191980
	s_add_u32 s92, s90, s92                                    // 000000003598: 805C5C5A
	s_addc_u32 s93, 0, s93                                     // 00000000359C: 825D5D80
	buffer_load_dwordx4 v34, s[20:23], 0 offen lds             // 0000000035A0: E05D1000 80050022
	s_add_u32 m0, m0, s76                                      // 0000000035A8: 807C4C7C
	buffer_load_dword v7, s[28:31], 0 offen lds                // 0000000035AC: E0511000 80070007
	s_add_u32 m0, 0, s52                                       // 0000000035B4: 807C3480
	s_add_u32 s60, 0x200, s80                                  // 0000000035B8: 803C50FF 00000200
	s_cmp_lt_u32 s60, s81                                      // 0000000035C0: BF0A513C
	s_cselect_b32 s57, s57, 0                                  // 0000000035C4: 85398039
	s_cselect_b32 s3, s3, 0                                    // 0000000035C8: 85038003
	s_add_u32 s20, s57, s20                                    // 0000000035CC: 80141439
	s_addc_u32 s21, 0, s21                                     // 0000000035D0: 82151580
	s_add_u32 s28, s3, s28                                     // 0000000035D4: 801C1C03
	s_addc_u32 s29, 0, s29                                     // 0000000035D8: 821D1D80
	buffer_load_dword v22, v11, s[32:35], 0 offen              // 0000000035DC: E0501000 8008160B
	buffer_load_dword v25, v13, s[32:35], 0 offen              // 0000000035E4: E0501000 8008190D
	s_add_u32 s60, 0x200, s80                                  // 0000000035EC: 803C50FF 00000200
	s_cmp_lt_u32 s60, s81                                      // 0000000035F4: BF0A513C
	s_cselect_b32 s4, s4, 0                                    // 0000000035F8: 85048004
	s_add_u32 s32, s4, s32                                     // 0000000035FC: 80202004
	s_addc_u32 s33, 0, s33                                     // 000000003600: 82212180
	buffer_load_dwordx4 a[64:67], v36, s[24:27], 0 offen       // 000000003604: E05C1000 80864024
	buffer_load_dwordx4 a[68:71], v36, s[24:27], 0 offen offset:1024// 00000000360C: E05C1400 80864424
	buffer_load_dwordx4 a[72:75], v37, s[24:27], 0 offen       // 000000003614: E05C1000 80864825
	buffer_load_dwordx4 a[76:79], v37, s[24:27], 0 offen offset:1024// 00000000361C: E05C1400 80864C25
	buffer_load_dwordx4 a[80:83], v36, s[24:27], 0 offen offset:2048// 000000003624: E05C1800 80865024
	buffer_load_dwordx4 a[84:87], v36, s[24:27], 0 offen offset:3072// 00000000362C: E05C1C00 80865424
	buffer_load_dwordx4 a[88:91], v37, s[24:27], 0 offen offset:2048// 000000003634: E05C1800 80865825
	buffer_load_dwordx4 a[92:95], v37, s[24:27], 0 offen offset:3072// 00000000363C: E05C1C00 80865C25
	buffer_load_dwordx4 a[96:99], v36, s[92:95], 0 offen       // 000000003644: E05C1000 80976024
	buffer_load_dwordx4 a[100:103], v36, s[92:95], 0 offen offset:1024// 00000000364C: E05C1400 80976424
	buffer_load_dwordx4 a[104:107], v37, s[92:95], 0 offen     // 000000003654: E05C1000 80976825
	buffer_load_dwordx4 a[108:111], v37, s[92:95], 0 offen offset:1024// 00000000365C: E05C1400 80976C25
	buffer_load_dwordx4 a[112:115], v36, s[92:95], 0 offen offset:2048// 000000003664: E05C1800 80977024
	buffer_load_dwordx4 a[116:119], v36, s[92:95], 0 offen offset:3072// 00000000366C: E05C1C00 80977424
	buffer_load_dwordx4 a[120:123], v37, s[92:95], 0 offen offset:2048// 000000003674: E05C1800 80977825
	buffer_load_dwordx4 a[124:127], v37, s[92:95], 0 offen offset:3072// 00000000367C: E05C1C00 80977C25
	s_add_u32 s60, 0x200, s80                                  // 000000003684: 803C50FF 00000200
	s_cmp_lt_u32 s60, s81                                      // 00000000368C: BF0A513C
	s_cselect_b32 s58, s58, 0                                  // 000000003690: 853A803A
	s_cselect_b32 s90, s90, 0                                  // 000000003694: 855A805A
	s_add_u32 s24, s58, s24                                    // 000000003698: 8018183A
	s_addc_u32 s25, 0, s25                                     // 00000000369C: 82191980
	s_add_u32 s92, s90, s92                                    // 0000000036A0: 805C5C5A
	s_addc_u32 s93, 0, s93                                     // 0000000036A4: 825D5D80
	v_mov_b32_e32 v96, 0                                       // 0000000036A8: 7EC00280
	v_mov_b32_e32 v64, 0                                       // 0000000036AC: 7E800280
	v_mov_b32_e32 v97, 0                                       // 0000000036B0: 7EC20280
	v_mov_b32_e32 v65, 0                                       // 0000000036B4: 7E820280
	v_mov_b32_e32 v98, 0                                       // 0000000036B8: 7EC40280
	v_mov_b32_e32 v66, 0                                       // 0000000036BC: 7E840280
	v_mov_b32_e32 v99, 0                                       // 0000000036C0: 7EC60280
	v_mov_b32_e32 v67, 0                                       // 0000000036C4: 7E860280
	v_mov_b32_e32 v100, 0                                      // 0000000036C8: 7EC80280
	v_mov_b32_e32 v68, 0                                       // 0000000036CC: 7E880280
	v_mov_b32_e32 v101, 0                                      // 0000000036D0: 7ECA0280
	v_mov_b32_e32 v69, 0                                       // 0000000036D4: 7E8A0280
	v_mov_b32_e32 v102, 0                                      // 0000000036D8: 7ECC0280
	v_mov_b32_e32 v70, 0                                       // 0000000036DC: 7E8C0280
	v_mov_b32_e32 v103, 0                                      // 0000000036E0: 7ECE0280
	v_mov_b32_e32 v71, 0                                       // 0000000036E4: 7E8E0280
	v_mov_b32_e32 v104, 0                                      // 0000000036E8: 7ED00280
	v_mov_b32_e32 v72, 0                                       // 0000000036EC: 7E900280
	v_mov_b32_e32 v105, 0                                      // 0000000036F0: 7ED20280
	v_mov_b32_e32 v73, 0                                       // 0000000036F4: 7E920280
	v_mov_b32_e32 v106, 0                                      // 0000000036F8: 7ED40280
	v_mov_b32_e32 v74, 0                                       // 0000000036FC: 7E940280
	v_mov_b32_e32 v107, 0                                      // 000000003700: 7ED60280
	v_mov_b32_e32 v75, 0                                       // 000000003704: 7E960280
	v_mov_b32_e32 v108, 0                                      // 000000003708: 7ED80280
	v_mov_b32_e32 v76, 0                                       // 00000000370C: 7E980280
	v_mov_b32_e32 v109, 0                                      // 000000003710: 7EDA0280
	v_mov_b32_e32 v77, 0                                       // 000000003714: 7E9A0280
	v_mov_b32_e32 v110, 0                                      // 000000003718: 7EDC0280
	v_mov_b32_e32 v78, 0                                       // 00000000371C: 7E9C0280
	v_mov_b32_e32 v111, 0                                      // 000000003720: 7EDE0280
	v_mov_b32_e32 v79, 0                                       // 000000003724: 7E9E0280
	v_lshrrev_b32_e32 v46, 4, v0                               // 000000003728: 205C0084
	v_mul_lo_u32 v4, 34, v46                                   // 00000000372C: D2850004 00025CA2
	v_and_b32_e32 v46, 15, v0                                  // 000000003734: 265C008F
	v_mul_lo_u32 v47, 2, v46                                   // 000000003738: D285002F 00025C82
	v_add_u32_e32 v4, v47, v4                                  // 000000003740: 6808092F
	s_mul_i32 s60, s7, 0x88                                    // 000000003744: 923CFF07 00000088
	v_add_u32_e32 v4, s60, v4                                  // 00000000374C: 6808083C
	v_lshlrev_b32_e32 v4, 2, v4                                // 000000003750: 24080882
	v_lshrrev_b32_e32 v46, 1, v0                               // 000000003754: 205C0081
	v_mul_lo_u32 v5, 34, v46                                   // 000000003758: D2850005 00025CA2
	v_and_b32_e32 v47, 1, v0                                   // 000000003760: 265E0081
	v_add_u32_e32 v5, v47, v5                                  // 000000003764: 680A0B2F
	s_mov_b32 s60, 0                                           // 000000003768: BEBC0080
	s_lshr_b32 s61, s7, 1                                      // 00000000376C: 8F3D8107
	s_mul_i32 s61, s61, 8                                      // 000000003770: 923D883D
	s_add_u32 s60, s61, s60                                    // 000000003774: 803C3C3D
	s_and_b32 s61, s7, 1                                       // 000000003778: 863D8107
	s_mul_i32 s61, s61, 2                                      // 00000000377C: 923D823D
	s_add_u32 s60, s61, s60                                    // 000000003780: 803C3C3D
	s_mul_i32 s60, 2, s60                                      // 000000003784: 923C3C82
	v_add_u32_e32 v5, s60, v5                                  // 000000003788: 680A0A3C
	v_lshlrev_b32_e32 v5, 2, v5                                // 00000000378C: 240A0A82
	s_waitcnt vmcnt(38)                                        // 000000003790: BF8C8F76
	s_barrier                                                  // 000000003794: BF8A0000
	ds_read_b128 v[112:115], v2                                // 000000003798: D9FE0000 70000002
	ds_read_b128 v[116:119], v2 offset:64                      // 0000000037A0: D9FE0040 74000002
	ds_read_b128 v[120:123], v2 offset:512                     // 0000000037A8: D9FE0200 78000002
	ds_read_b128 v[124:127], v2 offset:576                     // 0000000037B0: D9FE0240 7C000002
	ds_read_b32 v15, v3 offset:4352                            // 0000000037B8: D86C1100 0F000003
	ds_read_b32 v16, v3 offset:4608                            // 0000000037C0: D86C1200 10000003
	ds_read_b32 v17, v3 offset:4864                            // 0000000037C8: D86C1300 11000003
	ds_read_b32 v18, v3 offset:5120                            // 0000000037D0: D86C1400 12000003
	s_cmp_lt_i32 s7, 2                                         // 0000000037D8: BF048207
	s_cbranch_scc0 label_093F                                  // 0000000037DC: BF8406C7

00000000000037e0 <label_0278>:
	s_waitcnt vmcnt(34) lgkmcnt(0)                             // 0000000037E0: BF8C8072
	s_barrier                                                  // 0000000037E4: BF8A0000
	v_mfma_f32_16x16x128_f8f6f4 v[104:107], a[0:7], v[112:119], 0// 0000000037E8: D3AD0068 0A02E100
	s_waitcnt vmcnt(26)                                        // 0000000037F0: BF8C4F7A
	v_mfma_f32_16x16x128_f8f6f4 v[108:111], a[8:15], v[112:119], 0// 0000000037F4: D3AD006C 0A02E108
	buffer_load_dwordx4 v34, s[20:23], 0 offen lds             // 0000000037FC: E05D1000 80050022
	s_add_u32 m0, m0, s76                                      // 000000003804: 807C4C7C
	buffer_load_dword v7, s[28:31], 0 offen lds                // 000000003808: E0511000 80070007
	s_add_u32 m0, 0, s50                                       // 000000003810: 807C3280
	buffer_load_dword v23, v11, s[32:35], 0 offen              // 000000003814: E0501000 8008170B
	buffer_load_dword v26, v13, s[32:35], 0 offen              // 00000000381C: E0501000 80081A0D
	buffer_load_dwordx4 a[128:131], v36, s[24:27], 0 offen     // 000000003824: E05C1000 80868024
	buffer_load_dwordx4 a[132:135], v36, s[24:27], 0 offen offset:1024// 00000000382C: E05C1400 80868424
	buffer_load_dwordx4 a[136:139], v37, s[24:27], 0 offen     // 000000003834: E05C1000 80868825
	buffer_load_dwordx4 a[140:143], v37, s[24:27], 0 offen offset:1024// 00000000383C: E05C1400 80868C25
	v_mul_f32_dpp v46, v21, v15 row_newbcast:0 row_mask:0xf bank_mask:0xf// 000000003844: 0A5C1EFA FF015015
	v_mov_b32_e32 v47, v46                                     // 00000000384C: 7E5E032E
	v_pk_fma_f32 v[96:97], v[104:105], v[46:47], v[96:97]      // 000000003850: D3B04060 1D825D68
	v_pk_fma_f32 v[98:99], v[106:107], v[46:47], v[98:99]      // 000000003858: D3B04062 1D8A5D6A
	v_pk_fma_f32 v[100:101], v[108:109], v[46:47], v[100:101]  // 000000003860: D3B04064 1D925D6C
	v_pk_fma_f32 v[102:103], v[110:111], v[46:47], v[102:103]  // 000000003868: D3B04066 1D9A5D6E
	s_waitcnt vmcnt(32)                                        // 000000003870: BF8C8F70
	v_mfma_f32_16x16x128_f8f6f4 v[104:107], a[16:23], v[120:127], 0// 000000003874: D3AD0068 0A02F110
	s_waitcnt vmcnt(30)                                        // 00000000387C: BF8C4F7E
	v_mfma_f32_16x16x128_f8f6f4 v[108:111], a[24:31], v[120:127], 0// 000000003880: D3AD006C 0A02F118
	buffer_load_dwordx4 a[144:147], v36, s[24:27], 0 offen offset:2048// 000000003888: E05C1800 80869024
	buffer_load_dwordx4 a[148:151], v36, s[24:27], 0 offen offset:3072// 000000003890: E05C1C00 80869424
	buffer_load_dwordx4 a[152:155], v37, s[24:27], 0 offen offset:2048// 000000003898: E05C1800 80869825
	buffer_load_dwordx4 a[156:159], v37, s[24:27], 0 offen offset:3072// 0000000038A0: E05C1C00 80869C25
	v_mul_f32_dpp v46, v21, v16 row_newbcast:2 row_mask:0xf bank_mask:0xf// 0000000038A8: 0A5C20FA FF015215
	v_mov_b32_e32 v47, v46                                     // 0000000038B0: 7E5E032E
	v_pk_fma_f32 v[96:97], v[104:105], v[46:47], v[96:97]      // 0000000038B4: D3B04060 1D825D68
	v_pk_fma_f32 v[98:99], v[106:107], v[46:47], v[98:99]      // 0000000038BC: D3B04062 1D8A5D6A
	v_pk_fma_f32 v[100:101], v[108:109], v[46:47], v[100:101]  // 0000000038C4: D3B04064 1D925D6C
	v_pk_fma_f32 v[102:103], v[110:111], v[46:47], v[102:103]  // 0000000038CC: D3B04066 1D9A5D6E
	s_add_u32 s60, 0x300, s80                                  // 0000000038D4: 803C50FF 00000300
	s_cmp_lt_u32 s60, s81                                      // 0000000038DC: BF0A513C
	s_cselect_b32 s4, s4, 0                                    // 0000000038E0: 85048004
	s_add_u32 s32, s4, s32                                     // 0000000038E4: 80202004
	s_addc_u32 s33, 0, s33                                     // 0000000038E8: 82212180
	s_waitcnt vmcnt(20)                                        // 0000000038EC: BF8C4F74
	s_barrier                                                  // 0000000038F0: BF8A0000
	v_mfma_f32_16x16x128_f8f6f4 v[104:107], a[32:39], v[112:119], 0// 0000000038F4: D3AD0068 0A02E120
	s_waitcnt vmcnt(20)                                        // 0000000038FC: BF8C4F74
	v_mfma_f32_16x16x128_f8f6f4 v[108:111], a[40:47], v[112:119], 0// 000000003900: D3AD006C 0A02E128
	buffer_load_dwordx4 a[160:163], v36, s[92:95], 0 offen     // 000000003908: E05C1000 8097A024
	buffer_load_dwordx4 a[164:167], v36, s[92:95], 0 offen offset:1024// 000000003910: E05C1400 8097A424
	buffer_load_dwordx4 a[168:171], v37, s[92:95], 0 offen     // 000000003918: E05C1000 8097A825
	buffer_load_dwordx4 a[172:175], v37, s[92:95], 0 offen offset:1024// 000000003920: E05C1400 8097AC25
	v_mul_f32_dpp v46, v24, v15 row_newbcast:0 row_mask:0xf bank_mask:0xf// 000000003928: 0A5C1EFA FF015018
	v_mov_b32_e32 v47, v46                                     // 000000003930: 7E5E032E
	v_pk_fma_f32 v[64:65], v[104:105], v[46:47], v[64:65]      // 000000003934: D3B04040 1D025D68
	v_pk_fma_f32 v[66:67], v[106:107], v[46:47], v[66:67]      // 00000000393C: D3B04042 1D0A5D6A
	v_pk_fma_f32 v[68:69], v[108:109], v[46:47], v[68:69]      // 000000003944: D3B04044 1D125D6C
	v_pk_fma_f32 v[70:71], v[110:111], v[46:47], v[70:71]      // 00000000394C: D3B04046 1D1A5D6E
	s_waitcnt vmcnt(22)                                        // 000000003954: BF8C4F76
	v_mfma_f32_16x16x128_f8f6f4 v[104:107], a[48:55], v[120:127], 0// 000000003958: D3AD0068 0A02F130
	ds_read_b128 v[128:131], v2 offset:5376                    // 000000003960: D9FE1500 80000002
	ds_read_b128 v[132:135], v2 offset:5440                    // 000000003968: D9FE1540 84000002
	ds_read_b128 v[136:139], v2 offset:5888                    // 000000003970: D9FE1700 88000002
	ds_read_b128 v[140:143], v2 offset:5952                    // 000000003978: D9FE1740 8C000002
	ds_read_b32 v17, v3 offset:9728                            // 000000003980: D86C2600 11000003
	ds_read_b32 v18, v3 offset:9984                            // 000000003988: D86C2700 12000003
	s_waitcnt vmcnt(20)                                        // 000000003990: BF8C4F74
	v_mfma_f32_16x16x128_f8f6f4 v[108:111], a[56:63], v[120:127], 0// 000000003994: D3AD006C 0A02F138
	buffer_load_dwordx4 a[176:179], v36, s[92:95], 0 offen offset:2048// 00000000399C: E05C1800 8097B024
	buffer_load_dwordx4 a[180:183], v36, s[92:95], 0 offen offset:3072// 0000000039A4: E05C1C00 8097B424
	buffer_load_dwordx4 a[184:187], v37, s[92:95], 0 offen offset:2048// 0000000039AC: E05C1800 8097B825
	buffer_load_dwordx4 a[188:191], v37, s[92:95], 0 offen offset:3072// 0000000039B4: E05C1C00 8097BC25
	v_mul_f32_dpp v46, v24, v16 row_newbcast:2 row_mask:0xf bank_mask:0xf// 0000000039BC: 0A5C20FA FF015218
	v_mov_b32_e32 v47, v46                                     // 0000000039C4: 7E5E032E
	v_pk_fma_f32 v[64:65], v[104:105], v[46:47], v[64:65]      // 0000000039C8: D3B04040 1D025D68
	v_pk_fma_f32 v[66:67], v[106:107], v[46:47], v[66:67]      // 0000000039D0: D3B04042 1D0A5D6A
	v_pk_fma_f32 v[68:69], v[108:109], v[46:47], v[68:69]      // 0000000039D8: D3B04044 1D125D6C
	v_pk_fma_f32 v[70:71], v[110:111], v[46:47], v[70:71]      // 0000000039E0: D3B04046 1D1A5D6E
	s_add_u32 s60, 0x300, s80                                  // 0000000039E8: 803C50FF 00000300
	s_cmp_lt_u32 s60, s81                                      // 0000000039F0: BF0A513C
	s_cselect_b32 s57, s57, 0                                  // 0000000039F4: 85398039
	s_cselect_b32 s3, s3, 0                                    // 0000000039F8: 85038003
	s_add_u32 s60, 0x300, s80                                  // 0000000039FC: 803C50FF 00000300
	s_cmp_lt_u32 s60, s81                                      // 000000003A04: BF0A513C
	s_cselect_b32 s58, s58, 0                                  // 000000003A08: 853A803A
	s_cselect_b32 s90, s90, 0                                  // 000000003A0C: 855A805A
	s_add_u32 s20, s57, s20                                    // 000000003A10: 80141439
	s_addc_u32 s21, 0, s21                                     // 000000003A14: 82151580
	s_add_u32 s28, s3, s28                                     // 000000003A18: 801C1C03
	s_addc_u32 s29, 0, s29                                     // 000000003A1C: 821D1D80
	s_add_u32 s24, s58, s24                                    // 000000003A20: 8018183A
	s_addc_u32 s25, 0, s25                                     // 000000003A24: 82191980
	s_add_u32 s92, s90, s92                                    // 000000003A28: 805C5C5A
	s_addc_u32 s93, 0, s93                                     // 000000003A2C: 825D5D80
	s_addk_i32 s80, 0x100                                      // 000000003A30: B7500100
	s_cmp_lt_i32 s80, s81                                      // 000000003A34: BF045150
	s_cbranch_scc0 label_043E                                  // 000000003A38: BF84012F
	s_waitcnt vmcnt(34) lgkmcnt(0)                             // 000000003A3C: BF8C8072
	s_barrier                                                  // 000000003A40: BF8A0000
	v_mfma_f32_16x16x128_f8f6f4 v[104:107], a[64:71], v[128:135], 0// 000000003A44: D3AD0068 0A030140
	s_waitcnt vmcnt(26)                                        // 000000003A4C: BF8C4F7A
	v_mfma_f32_16x16x128_f8f6f4 v[108:111], a[72:79], v[128:135], 0// 000000003A50: D3AD006C 0A030148
	buffer_load_dwordx4 v34, s[20:23], 0 offen lds             // 000000003A58: E05D1000 80050022
	s_add_u32 m0, m0, s76                                      // 000000003A60: 807C4C7C
	buffer_load_dword v7, s[28:31], 0 offen lds                // 000000003A64: E0511000 80070007
	s_add_u32 m0, 0, s51                                       // 000000003A6C: 807C3380
	buffer_load_dword v21, v11, s[32:35], 0 offen              // 000000003A70: E0501000 8008150B
	buffer_load_dword v24, v13, s[32:35], 0 offen              // 000000003A78: E0501000 8008180D
	buffer_load_dwordx4 a[0:3], v36, s[24:27], 0 offen         // 000000003A80: E05C1000 80860024
	buffer_load_dwordx4 a[4:7], v36, s[24:27], 0 offen offset:1024// 000000003A88: E05C1400 80860424
	buffer_load_dwordx4 a[8:11], v37, s[24:27], 0 offen        // 000000003A90: E05C1000 80860825
	buffer_load_dwordx4 a[12:15], v37, s[24:27], 0 offen offset:1024// 000000003A98: E05C1400 80860C25
	v_mul_f32_dpp v46, v22, v17 row_newbcast:0 row_mask:0xf bank_mask:0xf// 000000003AA0: 0A5C22FA FF015016
	v_mov_b32_e32 v47, v46                                     // 000000003AA8: 7E5E032E
	v_pk_fma_f32 v[96:97], v[104:105], v[46:47], v[96:97]      // 000000003AAC: D3B04060 1D825D68
	v_pk_fma_f32 v[98:99], v[106:107], v[46:47], v[98:99]      // 000000003AB4: D3B04062 1D8A5D6A
	v_pk_fma_f32 v[100:101], v[108:109], v[46:47], v[100:101]  // 000000003ABC: D3B04064 1D925D6C
	v_pk_fma_f32 v[102:103], v[110:111], v[46:47], v[102:103]  // 000000003AC4: D3B04066 1D9A5D6E
	s_waitcnt vmcnt(32)                                        // 000000003ACC: BF8C8F70
	v_mfma_f32_16x16x128_f8f6f4 v[104:107], a[80:87], v[136:143], 0// 000000003AD0: D3AD0068 0A031150
	s_waitcnt vmcnt(30)                                        // 000000003AD8: BF8C4F7E
	v_mfma_f32_16x16x128_f8f6f4 v[108:111], a[88:95], v[136:143], 0// 000000003ADC: D3AD006C 0A031158
	buffer_load_dwordx4 a[16:19], v36, s[24:27], 0 offen offset:2048// 000000003AE4: E05C1800 80861024
	buffer_load_dwordx4 a[20:23], v36, s[24:27], 0 offen offset:3072// 000000003AEC: E05C1C00 80861424
	buffer_load_dwordx4 a[24:27], v37, s[24:27], 0 offen offset:2048// 000000003AF4: E05C1800 80861825
	buffer_load_dwordx4 a[28:31], v37, s[24:27], 0 offen offset:3072// 000000003AFC: E05C1C00 80861C25
	v_mul_f32_dpp v46, v22, v18 row_newbcast:2 row_mask:0xf bank_mask:0xf// 000000003B04: 0A5C24FA FF015216
	v_mov_b32_e32 v47, v46                                     // 000000003B0C: 7E5E032E
	v_pk_fma_f32 v[96:97], v[104:105], v[46:47], v[96:97]      // 000000003B10: D3B04060 1D825D68
	v_pk_fma_f32 v[98:99], v[106:107], v[46:47], v[98:99]      // 000000003B18: D3B04062 1D8A5D6A
	v_pk_fma_f32 v[100:101], v[108:109], v[46:47], v[100:101]  // 000000003B20: D3B04064 1D925D6C
	v_pk_fma_f32 v[102:103], v[110:111], v[46:47], v[102:103]  // 000000003B28: D3B04066 1D9A5D6E
	s_add_u32 s60, 0x300, s80                                  // 000000003B30: 803C50FF 00000300
	s_cmp_lt_u32 s60, s81                                      // 000000003B38: BF0A513C
	s_cselect_b32 s4, s4, 0                                    // 000000003B3C: 85048004
	s_add_u32 s32, s4, s32                                     // 000000003B40: 80202004
	s_addc_u32 s33, 0, s33                                     // 000000003B44: 82212180
	s_waitcnt vmcnt(20)                                        // 000000003B48: BF8C4F74
	s_barrier                                                  // 000000003B4C: BF8A0000
	v_mfma_f32_16x16x128_f8f6f4 v[104:107], a[96:103], v[128:135], 0// 000000003B50: D3AD0068 0A030160
	s_waitcnt vmcnt(20)                                        // 000000003B58: BF8C4F74
	v_mfma_f32_16x16x128_f8f6f4 v[108:111], a[104:111], v[128:135], 0// 000000003B5C: D3AD006C 0A030168
	buffer_load_dwordx4 a[32:35], v36, s[92:95], 0 offen       // 000000003B64: E05C1000 80972024
	buffer_load_dwordx4 a[36:39], v36, s[92:95], 0 offen offset:1024// 000000003B6C: E05C1400 80972424
	buffer_load_dwordx4 a[40:43], v37, s[92:95], 0 offen       // 000000003B74: E05C1000 80972825
	buffer_load_dwordx4 a[44:47], v37, s[92:95], 0 offen offset:1024// 000000003B7C: E05C1400 80972C25
	v_mul_f32_dpp v46, v25, v17 row_newbcast:0 row_mask:0xf bank_mask:0xf// 000000003B84: 0A5C22FA FF015019
	v_mov_b32_e32 v47, v46                                     // 000000003B8C: 7E5E032E
	v_pk_fma_f32 v[64:65], v[104:105], v[46:47], v[64:65]      // 000000003B90: D3B04040 1D025D68
	v_pk_fma_f32 v[66:67], v[106:107], v[46:47], v[66:67]      // 000000003B98: D3B04042 1D0A5D6A
	v_pk_fma_f32 v[68:69], v[108:109], v[46:47], v[68:69]      // 000000003BA0: D3B04044 1D125D6C
	v_pk_fma_f32 v[70:71], v[110:111], v[46:47], v[70:71]      // 000000003BA8: D3B04046 1D1A5D6E
	s_waitcnt vmcnt(22)                                        // 000000003BB0: BF8C4F76
	v_mfma_f32_16x16x128_f8f6f4 v[104:107], a[112:119], v[136:143], 0// 000000003BB4: D3AD0068 0A031170
	ds_read_b128 v[144:147], v2 offset:10752                   // 000000003BBC: D9FE2A00 90000002
	ds_read_b128 v[148:151], v2 offset:10816                   // 000000003BC4: D9FE2A40 94000002
	ds_read_b128 v[152:155], v2 offset:11264                   // 000000003BCC: D9FE2C00 98000002
	ds_read_b128 v[156:159], v2 offset:11328                   // 000000003BD4: D9FE2C40 9C000002
	ds_read_b32 v19, v3 offset:15104                           // 000000003BDC: D86C3B00 13000003
	ds_read_b32 v20, v3 offset:15360                           // 000000003BE4: D86C3C00 14000003
	s_waitcnt vmcnt(20)                                        // 000000003BEC: BF8C4F74
	v_mfma_f32_16x16x128_f8f6f4 v[108:111], a[120:127], v[136:143], 0// 000000003BF0: D3AD006C 0A031178
	buffer_load_dwordx4 a[48:51], v36, s[92:95], 0 offen offset:2048// 000000003BF8: E05C1800 80973024
	buffer_load_dwordx4 a[52:55], v36, s[92:95], 0 offen offset:3072// 000000003C00: E05C1C00 80973424
	buffer_load_dwordx4 a[56:59], v37, s[92:95], 0 offen offset:2048// 000000003C08: E05C1800 80973825
	buffer_load_dwordx4 a[60:63], v37, s[92:95], 0 offen offset:3072// 000000003C10: E05C1C00 80973C25
	v_mul_f32_dpp v46, v25, v18 row_newbcast:2 row_mask:0xf bank_mask:0xf// 000000003C18: 0A5C24FA FF015219
	v_mov_b32_e32 v47, v46                                     // 000000003C20: 7E5E032E
	v_pk_fma_f32 v[64:65], v[104:105], v[46:47], v[64:65]      // 000000003C24: D3B04040 1D025D68
	v_pk_fma_f32 v[66:67], v[106:107], v[46:47], v[66:67]      // 000000003C2C: D3B04042 1D0A5D6A
	v_pk_fma_f32 v[68:69], v[108:109], v[46:47], v[68:69]      // 000000003C34: D3B04044 1D125D6C
	v_pk_fma_f32 v[70:71], v[110:111], v[46:47], v[70:71]      // 000000003C3C: D3B04046 1D1A5D6E
	s_add_u32 s60, 0x300, s80                                  // 000000003C44: 803C50FF 00000300
	s_cmp_lt_u32 s60, s81                                      // 000000003C4C: BF0A513C
	s_cselect_b32 s57, s57, 0                                  // 000000003C50: 85398039
	s_cselect_b32 s3, s3, 0                                    // 000000003C54: 85038003
	s_add_u32 s60, 0x300, s80                                  // 000000003C58: 803C50FF 00000300
	s_cmp_lt_u32 s60, s81                                      // 000000003C60: BF0A513C
	s_cselect_b32 s58, s58, 0                                  // 000000003C64: 853A803A
	s_cselect_b32 s90, s90, 0                                  // 000000003C68: 855A805A
	s_add_u32 s20, s57, s20                                    // 000000003C6C: 80141439
	s_addc_u32 s21, 0, s21                                     // 000000003C70: 82151580
	s_add_u32 s28, s3, s28                                     // 000000003C74: 801C1C03
	s_addc_u32 s29, 0, s29                                     // 000000003C78: 821D1D80
	s_add_u32 s24, s58, s24                                    // 000000003C7C: 8018183A
	s_addc_u32 s25, 0, s25                                     // 000000003C80: 82191980
	s_add_u32 s92, s90, s92                                    // 000000003C84: 805C5C5A
	s_addc_u32 s93, 0, s93                                     // 000000003C88: 825D5D80
	s_addk_i32 s80, 0x100                                      // 000000003C8C: B7500100
	s_cmp_lt_i32 s80, s81                                      // 000000003C90: BF045150
	s_cbranch_scc0 label_043E                                  // 000000003C94: BF840098
	s_waitcnt vmcnt(34) lgkmcnt(0)                             // 000000003C98: BF8C8072
	s_barrier                                                  // 000000003C9C: BF8A0000
	v_mfma_f32_16x16x128_f8f6f4 v[104:107], a[128:135], v[144:151], 0// 000000003CA0: D3AD0068 0A032180
	s_waitcnt vmcnt(26)                                        // 000000003CA8: BF8C4F7A
	v_mfma_f32_16x16x128_f8f6f4 v[108:111], a[136:143], v[144:151], 0// 000000003CAC: D3AD006C 0A032188
	buffer_load_dwordx4 v34, s[20:23], 0 offen lds             // 000000003CB4: E05D1000 80050022
	s_add_u32 m0, m0, s76                                      // 000000003CBC: 807C4C7C
	buffer_load_dword v7, s[28:31], 0 offen lds                // 000000003CC0: E0511000 80070007
	s_add_u32 m0, 0, s52                                       // 000000003CC8: 807C3480
	buffer_load_dword v22, v11, s[32:35], 0 offen              // 000000003CCC: E0501000 8008160B
	buffer_load_dword v25, v13, s[32:35], 0 offen              // 000000003CD4: E0501000 8008190D
	buffer_load_dwordx4 a[64:67], v36, s[24:27], 0 offen       // 000000003CDC: E05C1000 80864024
	buffer_load_dwordx4 a[68:71], v36, s[24:27], 0 offen offset:1024// 000000003CE4: E05C1400 80864424
	buffer_load_dwordx4 a[72:75], v37, s[24:27], 0 offen       // 000000003CEC: E05C1000 80864825
	buffer_load_dwordx4 a[76:79], v37, s[24:27], 0 offen offset:1024// 000000003CF4: E05C1400 80864C25
	v_mul_f32_dpp v46, v23, v19 row_newbcast:0 row_mask:0xf bank_mask:0xf// 000000003CFC: 0A5C26FA FF015017
	v_mov_b32_e32 v47, v46                                     // 000000003D04: 7E5E032E
	v_pk_fma_f32 v[96:97], v[104:105], v[46:47], v[96:97]      // 000000003D08: D3B04060 1D825D68
	v_pk_fma_f32 v[98:99], v[106:107], v[46:47], v[98:99]      // 000000003D10: D3B04062 1D8A5D6A
	v_pk_fma_f32 v[100:101], v[108:109], v[46:47], v[100:101]  // 000000003D18: D3B04064 1D925D6C
	v_pk_fma_f32 v[102:103], v[110:111], v[46:47], v[102:103]  // 000000003D20: D3B04066 1D9A5D6E
	s_waitcnt vmcnt(32)                                        // 000000003D28: BF8C8F70
	v_mfma_f32_16x16x128_f8f6f4 v[104:107], a[144:151], v[152:159], 0// 000000003D2C: D3AD0068 0A033190
	s_waitcnt vmcnt(30)                                        // 000000003D34: BF8C4F7E
	v_mfma_f32_16x16x128_f8f6f4 v[108:111], a[152:159], v[152:159], 0// 000000003D38: D3AD006C 0A033198
	buffer_load_dwordx4 a[80:83], v36, s[24:27], 0 offen offset:2048// 000000003D40: E05C1800 80865024
	buffer_load_dwordx4 a[84:87], v36, s[24:27], 0 offen offset:3072// 000000003D48: E05C1C00 80865424
	buffer_load_dwordx4 a[88:91], v37, s[24:27], 0 offen offset:2048// 000000003D50: E05C1800 80865825
	buffer_load_dwordx4 a[92:95], v37, s[24:27], 0 offen offset:3072// 000000003D58: E05C1C00 80865C25
	v_mul_f32_dpp v46, v23, v20 row_newbcast:2 row_mask:0xf bank_mask:0xf// 000000003D60: 0A5C28FA FF015217
	v_mov_b32_e32 v47, v46                                     // 000000003D68: 7E5E032E
	v_pk_fma_f32 v[96:97], v[104:105], v[46:47], v[96:97]      // 000000003D6C: D3B04060 1D825D68
	v_pk_fma_f32 v[98:99], v[106:107], v[46:47], v[98:99]      // 000000003D74: D3B04062 1D8A5D6A
	v_pk_fma_f32 v[100:101], v[108:109], v[46:47], v[100:101]  // 000000003D7C: D3B04064 1D925D6C
	v_pk_fma_f32 v[102:103], v[110:111], v[46:47], v[102:103]  // 000000003D84: D3B04066 1D9A5D6E
	s_add_u32 s60, 0x300, s80                                  // 000000003D8C: 803C50FF 00000300
	s_cmp_lt_u32 s60, s81                                      // 000000003D94: BF0A513C
	s_cselect_b32 s4, s4, 0                                    // 000000003D98: 85048004
	s_add_u32 s32, s4, s32                                     // 000000003D9C: 80202004
	s_addc_u32 s33, 0, s33                                     // 000000003DA0: 82212180
	s_waitcnt vmcnt(20)                                        // 000000003DA4: BF8C4F74
	s_barrier                                                  // 000000003DA8: BF8A0000
	v_mfma_f32_16x16x128_f8f6f4 v[104:107], a[160:167], v[144:151], 0// 000000003DAC: D3AD0068 0A0321A0
	s_waitcnt vmcnt(20)                                        // 000000003DB4: BF8C4F74
	v_mfma_f32_16x16x128_f8f6f4 v[108:111], a[168:175], v[144:151], 0// 000000003DB8: D3AD006C 0A0321A8
	buffer_load_dwordx4 a[96:99], v36, s[92:95], 0 offen       // 000000003DC0: E05C1000 80976024
	buffer_load_dwordx4 a[100:103], v36, s[92:95], 0 offen offset:1024// 000000003DC8: E05C1400 80976424
	buffer_load_dwordx4 a[104:107], v37, s[92:95], 0 offen     // 000000003DD0: E05C1000 80976825
	buffer_load_dwordx4 a[108:111], v37, s[92:95], 0 offen offset:1024// 000000003DD8: E05C1400 80976C25
	v_mul_f32_dpp v46, v26, v19 row_newbcast:0 row_mask:0xf bank_mask:0xf// 000000003DE0: 0A5C26FA FF01501A
	v_mov_b32_e32 v47, v46                                     // 000000003DE8: 7E5E032E
	v_pk_fma_f32 v[64:65], v[104:105], v[46:47], v[64:65]      // 000000003DEC: D3B04040 1D025D68
	v_pk_fma_f32 v[66:67], v[106:107], v[46:47], v[66:67]      // 000000003DF4: D3B04042 1D0A5D6A
	v_pk_fma_f32 v[68:69], v[108:109], v[46:47], v[68:69]      // 000000003DFC: D3B04044 1D125D6C
	v_pk_fma_f32 v[70:71], v[110:111], v[46:47], v[70:71]      // 000000003E04: D3B04046 1D1A5D6E
	s_waitcnt vmcnt(22)                                        // 000000003E0C: BF8C4F76
	v_mfma_f32_16x16x128_f8f6f4 v[104:107], a[176:183], v[152:159], 0// 000000003E10: D3AD0068 0A0331B0
	ds_read_b128 v[112:115], v2                                // 000000003E18: D9FE0000 70000002
	ds_read_b128 v[116:119], v2 offset:64                      // 000000003E20: D9FE0040 74000002
	ds_read_b128 v[120:123], v2 offset:512                     // 000000003E28: D9FE0200 78000002
	ds_read_b128 v[124:127], v2 offset:576                     // 000000003E30: D9FE0240 7C000002
	ds_read_b32 v15, v3 offset:4352                            // 000000003E38: D86C1100 0F000003
	ds_read_b32 v16, v3 offset:4608                            // 000000003E40: D86C1200 10000003
	s_waitcnt vmcnt(20)                                        // 000000003E48: BF8C4F74
	v_mfma_f32_16x16x128_f8f6f4 v[108:111], a[184:191], v[152:159], 0// 000000003E4C: D3AD006C 0A0331B8
	buffer_load_dwordx4 a[112:115], v36, s[92:95], 0 offen offset:2048// 000000003E54: E05C1800 80977024
	buffer_load_dwordx4 a[116:119], v36, s[92:95], 0 offen offset:3072// 000000003E5C: E05C1C00 80977424
	buffer_load_dwordx4 a[120:123], v37, s[92:95], 0 offen offset:2048// 000000003E64: E05C1800 80977825
	buffer_load_dwordx4 a[124:127], v37, s[92:95], 0 offen offset:3072// 000000003E6C: E05C1C00 80977C25
	v_mul_f32_dpp v46, v26, v20 row_newbcast:2 row_mask:0xf bank_mask:0xf// 000000003E74: 0A5C28FA FF01521A
	v_mov_b32_e32 v47, v46                                     // 000000003E7C: 7E5E032E
	v_pk_fma_f32 v[64:65], v[104:105], v[46:47], v[64:65]      // 000000003E80: D3B04040 1D025D68
	v_pk_fma_f32 v[66:67], v[106:107], v[46:47], v[66:67]      // 000000003E88: D3B04042 1D0A5D6A
	v_pk_fma_f32 v[68:69], v[108:109], v[46:47], v[68:69]      // 000000003E90: D3B04044 1D125D6C
	v_pk_fma_f32 v[70:71], v[110:111], v[46:47], v[70:71]      // 000000003E98: D3B04046 1D1A5D6E
	s_add_u32 s60, 0x300, s80                                  // 000000003EA0: 803C50FF 00000300
	s_cmp_lt_u32 s60, s81                                      // 000000003EA8: BF0A513C
	s_cselect_b32 s57, s57, 0                                  // 000000003EAC: 85398039
	s_cselect_b32 s3, s3, 0                                    // 000000003EB0: 85038003
	s_add_u32 s60, 0x300, s80                                  // 000000003EB4: 803C50FF 00000300
	s_cmp_lt_u32 s60, s81                                      // 000000003EBC: BF0A513C
	s_cselect_b32 s58, s58, 0                                  // 000000003EC0: 853A803A
	s_cselect_b32 s90, s90, 0                                  // 000000003EC4: 855A805A
	s_add_u32 s20, s57, s20                                    // 000000003EC8: 80141439
	s_addc_u32 s21, 0, s21                                     // 000000003ECC: 82151580
	s_add_u32 s28, s3, s28                                     // 000000003ED0: 801C1C03
	s_addc_u32 s29, 0, s29                                     // 000000003ED4: 821D1D80
	s_add_u32 s24, s58, s24                                    // 000000003ED8: 8018183A
	s_addc_u32 s25, 0, s25                                     // 000000003EDC: 82191980
	s_add_u32 s92, s90, s92                                    // 000000003EE0: 805C5C5A
	s_addc_u32 s93, 0, s93                                     // 000000003EE4: 825D5D80
	s_addk_i32 s80, 0x100                                      // 000000003EE8: B7500100
	s_cmp_lt_i32 s80, s81                                      // 000000003EEC: BF045150
	s_cbranch_scc0 label_043E                                  // 000000003EF0: BF840001
	s_branch label_0278                                        // 000000003EF4: BF82FE3A

0000000000003ef8 <label_043E>:
	s_mov_b32 s20, 0                                           // 000000003EF8: BE940080
	s_cmp_lt_u32 s89, s66                                      // 000000003EFC: BF0A4259
	s_cselect_b32 s60, 0, 1                                    // 000000003F00: 853C8180
	s_lshl1_add_u32 s20, s20, s60                              // 000000003F04: 97143C14
	s_cmp_lt_u32 s88, s66                                      // 000000003F08: BF0A4258
	s_cselect_b32 s60, 0, 1                                    // 000000003F0C: 853C8180
	s_lshl1_add_u32 s20, s20, s60                              // 000000003F10: 97143C14
	s_cmp_lt_u32 s87, s66                                      // 000000003F14: BF0A4257
	s_cselect_b32 s60, 0, 1                                    // 000000003F18: 853C8180
	s_lshl1_add_u32 s20, s20, s60                              // 000000003F1C: 97143C14
	s_cmp_lt_u32 s86, s66                                      // 000000003F20: BF0A4256
	s_cselect_b32 s60, 0, 1                                    // 000000003F24: 853C8180
	s_lshl1_add_u32 s20, s20, s60                              // 000000003F28: 97143C14
	s_cmp_lt_u32 s85, s66                                      // 000000003F2C: BF0A4255
	s_cselect_b32 s60, 0, 1                                    // 000000003F30: 853C8180
	s_lshl1_add_u32 s20, s20, s60                              // 000000003F34: 97143C14
	s_cmp_lt_u32 s84, s66                                      // 000000003F38: BF0A4254
	s_cselect_b32 s60, 0, 1                                    // 000000003F3C: 853C8180
	s_lshl1_add_u32 s20, s20, s60                              // 000000003F40: 97143C14
	s_cmp_lt_u32 s83, s66                                      // 000000003F44: BF0A4253
	s_cselect_b32 s60, 0, 1                                    // 000000003F48: 853C8180
	s_lshl1_add_u32 s20, s20, s60                              // 000000003F4C: 97143C14
	s_cmp_lt_u32 s82, s66                                      // 000000003F50: BF0A4252
	s_cselect_b32 s60, 0, 1                                    // 000000003F54: 853C8180
	s_lshl1_add_u32 s20, s20, s60                              // 000000003F58: 97143C14
	s_waitcnt vmcnt(4)                                         // 000000003F5C: BF8C0F74
	buffer_load_dword v21, v6, s[16:19], 0 offen               // 000000003F60: E0501000 80041506
	s_add_u32 s16, s79, s16                                    // 000000003F68: 8010104F
	s_addc_u32 s17, 0, s17                                     // 000000003F6C: 82111180
	buffer_load_dwordx4 a[0:3], v38, s[12:15], 0 offen         // 000000003F70: E05C1000 80830026
	buffer_load_dwordx4 a[4:7], v38, s[12:15], 0 offen offset:1024// 000000003F78: E05C1400 80830426
	buffer_load_dwordx4 a[8:11], v39, s[12:15], 0 offen        // 000000003F80: E05C1000 80830827
	buffer_load_dwordx4 a[12:15], v39, s[12:15], 0 offen offset:1024// 000000003F88: E05C1400 80830C27
	v_mul_f32_e64 v46, -v96, s6                                // 000000003F90: D105002E 20000D60
	v_mul_f32_e64 v47, -v97, s6                                // 000000003F98: D105002F 20000D61
	v_mul_f32_e64 v48, -v98, s6                                // 000000003FA0: D1050030 20000D62
	v_mul_f32_e64 v49, -v99, s6                                // 000000003FA8: D1050031 20000D63
	v_exp_f32_e32 v46, v46                                     // 000000003FB0: 7E5C412E
	v_exp_f32_e32 v47, v47                                     // 000000003FB4: 7E5E412F
	v_exp_f32_e32 v48, v48                                     // 000000003FB8: 7E604130
	v_exp_f32_e32 v49, v49                                     // 000000003FBC: 7E624131
	buffer_load_dwordx4 a[16:19], v40, s[12:15], 0 offen       // 000000003FC0: E05C1000 80831028
	buffer_load_dwordx4 a[20:23], v40, s[12:15], 0 offen offset:1024// 000000003FC8: E05C1400 80831428
	buffer_load_dwordx4 a[24:27], v41, s[12:15], 0 offen       // 000000003FD0: E05C1000 80831829
	buffer_load_dwordx4 a[28:31], v41, s[12:15], 0 offen offset:1024// 000000003FD8: E05C1400 80831C29
	s_add_u32 s12, s56, s12                                    // 000000003FE0: 800C0C38
	s_addc_u32 s13, 0, s13                                     // 000000003FE4: 820D0D80
	v_add_f32_e64 v46, v46, 1.0                                // 000000003FE8: D101002E 0001E52E
	v_add_f32_e64 v47, v47, 1.0                                // 000000003FF0: D101002F 0001E52F
	v_add_f32_e64 v48, v48, 1.0                                // 000000003FF8: D1010030 0001E530
	v_add_f32_e64 v49, v49, 1.0                                // 000000004000: D1010031 0001E531
	v_rcp_f32_e32 v46, v46                                     // 000000004008: 7E5C452E
	v_rcp_f32_e32 v47, v47                                     // 00000000400C: 7E5E452F
	v_rcp_f32_e32 v48, v48                                     // 000000004010: 7E604530
	v_rcp_f32_e32 v49, v49                                     // 000000004014: 7E624531
	v_mul_f32_e32 v96, v96, v46                                // 000000004018: 0AC05D60
	v_mul_f32_e32 v97, v97, v47                                // 00000000401C: 0AC25F61
	v_mul_f32_e32 v98, v98, v48                                // 000000004020: 0AC46162
	v_mul_f32_e32 v99, v99, v49                                // 000000004024: 0AC66363
	v_mul_f32_e32 v96, v96, v64                                // 000000004028: 0AC08160
	v_mul_f32_e32 v97, v97, v65                                // 00000000402C: 0AC28361
	v_mul_f32_e32 v98, v98, v66                                // 000000004030: 0AC48562
	v_mul_f32_e32 v99, v99, v67                                // 000000004034: 0AC68763
	s_waitcnt vmcnt(4)                                         // 000000004038: BF8C0F74
	buffer_load_dword v22, v6, s[16:19], 0 offen               // 00000000403C: E0501000 80041606
	s_add_u32 s16, s79, s16                                    // 000000004044: 8010104F
	s_addc_u32 s17, 0, s17                                     // 000000004048: 82111180
	buffer_load_dwordx4 a[32:35], v38, s[12:15], 0 offen       // 00000000404C: E05C1000 80832026
	buffer_load_dwordx4 a[36:39], v38, s[12:15], 0 offen offset:1024// 000000004054: E05C1400 80832426
	buffer_load_dwordx4 a[40:43], v39, s[12:15], 0 offen       // 00000000405C: E05C1000 80832827
	buffer_load_dwordx4 a[44:47], v39, s[12:15], 0 offen offset:1024// 000000004064: E05C1400 80832C27
	v_mul_f32_e64 v46, -v100, s6                               // 00000000406C: D105002E 20000D64
	v_mul_f32_e64 v47, -v101, s6                               // 000000004074: D105002F 20000D65
	v_mul_f32_e64 v48, -v102, s6                               // 00000000407C: D1050030 20000D66
	v_mul_f32_e64 v49, -v103, s6                               // 000000004084: D1050031 20000D67
	v_exp_f32_e32 v46, v46                                     // 00000000408C: 7E5C412E
	v_exp_f32_e32 v47, v47                                     // 000000004090: 7E5E412F
	v_exp_f32_e32 v48, v48                                     // 000000004094: 7E604130
	v_exp_f32_e32 v49, v49                                     // 000000004098: 7E624131
	buffer_load_dwordx4 a[48:51], v40, s[12:15], 0 offen       // 00000000409C: E05C1000 80833028
	buffer_load_dwordx4 a[52:55], v40, s[12:15], 0 offen offset:1024// 0000000040A4: E05C1400 80833428
	buffer_load_dwordx4 a[56:59], v41, s[12:15], 0 offen       // 0000000040AC: E05C1000 80833829
	buffer_load_dwordx4 a[60:63], v41, s[12:15], 0 offen offset:1024// 0000000040B4: E05C1400 80833C29
	s_add_u32 s12, s56, s12                                    // 0000000040BC: 800C0C38
	s_addc_u32 s13, 0, s13                                     // 0000000040C0: 820D0D80
	v_add_f32_e64 v46, v46, 1.0                                // 0000000040C4: D101002E 0001E52E
	v_add_f32_e64 v47, v47, 1.0                                // 0000000040CC: D101002F 0001E52F
	v_add_f32_e64 v48, v48, 1.0                                // 0000000040D4: D1010030 0001E530
	v_add_f32_e64 v49, v49, 1.0                                // 0000000040DC: D1010031 0001E531
	v_rcp_f32_e32 v46, v46                                     // 0000000040E4: 7E5C452E
	v_rcp_f32_e32 v47, v47                                     // 0000000040E8: 7E5E452F
	v_rcp_f32_e32 v48, v48                                     // 0000000040EC: 7E604530
	v_rcp_f32_e32 v49, v49                                     // 0000000040F0: 7E624531
	v_mul_f32_e32 v100, v100, v46                              // 0000000040F4: 0AC85D64
	v_mul_f32_e32 v101, v101, v47                              // 0000000040F8: 0ACA5F65
	v_mul_f32_e32 v102, v102, v48                              // 0000000040FC: 0ACC6166
	v_mul_f32_e32 v103, v103, v49                              // 000000004100: 0ACE6367
	v_mul_f32_e32 v100, v100, v68                              // 000000004104: 0AC88964
	v_mul_f32_e32 v101, v101, v69                              // 000000004108: 0ACA8B65
	v_mul_f32_e32 v102, v102, v70                              // 00000000410C: 0ACC8D66
	v_mul_f32_e32 v103, v103, v71                              // 000000004110: 0ACE8F67
	v_lshlrev_b32_e32 v46, 2, v0                               // 000000004114: 245C0082
	s_mul_i32 s60, s82, s71                                    // 000000004118: 923C4752
	v_add_u32_e64 v80, v46, s60                                // 00000000411C: D1340050 0000792E
	v_mov_b32_e32 v81, 0                                       // 000000004124: 7EA20280
	s_mul_i32 s60, s83, s71                                    // 000000004128: 923C4753
	v_add_u32_e64 v82, v46, s60                                // 00000000412C: D1340052 0000792E
	v_mov_b32_e32 v83, 0                                       // 000000004134: 7EA60280
	s_mul_i32 s60, s84, s71                                    // 000000004138: 923C4754
	v_add_u32_e64 v84, v46, s60                                // 00000000413C: D1340054 0000792E
	v_mov_b32_e32 v85, 0                                       // 000000004144: 7EAA0280
	s_mul_i32 s60, s85, s71                                    // 000000004148: 923C4755
	v_add_u32_e64 v86, v46, s60                                // 00000000414C: D1340056 0000792E
	v_mov_b32_e32 v87, 0                                       // 000000004154: 7EAE0280
	v_mov_b32_e32 v30, 0x358637bd                              // 000000004158: 7E3C02FF 358637BD
	v_max3_f32 v30, |v96|, |v97|, v30                          // 000000004160: D1D3031E 047AC360
	v_max3_f32 v30, |v98|, |v99|, v30                          // 000000004168: D1D3031E 047AC762
	v_max3_f32 v30, |v100|, |v101|, v30                        // 000000004170: D1D3031E 047ACB64
	v_max3_f32 v30, |v102|, |v103|, v30                        // 000000004178: D1D3031E 047ACF66
	v_mov_b32_e32 v46, v30                                     // 000000004180: 7E5C031E
	s_nop 1                                                    // 000000004184: BF800001
	v_permlane32_swap_b32_e32 v46, v30                         // 000000004188: 7E5CB51E
	v_max_f32_e32 v30, v46, v30                                // 00000000418C: 163C3D2E
	v_mov_b32_e32 v46, v30                                     // 000000004190: 7E5C031E
	s_nop 1                                                    // 000000004194: BF800001
	v_permlane16_swap_b32_e32 v46, v30                         // 000000004198: 7E5CB31E
	v_max_f32_e32 v30, v46, v30                                // 00000000419C: 163C3D2E
	v_lshlrev_b32_e32 v46, 2, v0                               // 0000000041A0: 245C0082
	s_mul_i32 s60, 64, s7                                      // 0000000041A4: 923C07C0
	v_add_u32_e32 v46, s60, v46                                // 0000000041A8: 685C5C3C
	s_mov_b32 s60, 0xffff                                      // 0000000041AC: BEBC00FF 0000FFFF
	s_mov_b32 s61, 0                                           // 0000000041B4: BEBD0080
	s_mov_b64 exec, s[60:61]                                   // 0000000041B8: BEFE013C
	ds_write_b32 v46, v30 offset:16128                         // 0000000041BC: D81A3F00 00001E2E
	s_mov_b32 s60, -1                                          // 0000000041C4: BEBC00C1
	s_mov_b32 s61, -1                                          // 0000000041C8: BEBD00C1
	s_mov_b64 exec, s[60:61]                                   // 0000000041CC: BEFE013C
	s_waitcnt lgkmcnt(0)                                       // 0000000041D0: BF8CC07F
	s_barrier                                                  // 0000000041D4: BF8A0000
	v_lshlrev_b32_e32 v46, 2, v0                               // 0000000041D8: 245C0082
	ds_read_b32 v104, v46 offset:16128                         // 0000000041DC: D86C3F00 6800002E
	s_waitcnt lgkmcnt(0)                                       // 0000000041E4: BF8CC07F
	v_mov_b32_e32 v46, v104                                    // 0000000041E8: 7E5C0368
	s_nop 1                                                    // 0000000041EC: BF800001
	v_permlane32_swap_b32_e32 v46, v104                        // 0000000041F0: 7E5CB568
	v_max_f32_e32 v104, v46, v104                              // 0000000041F4: 16D0D12E
	v_mov_b32_e32 v46, v104                                    // 0000000041F8: 7E5C0368
	s_nop 1                                                    // 0000000041FC: BF800001
	v_permlane16_swap_b32_e32 v46, v104                        // 000000004200: 7E5CB368
	v_max_f32_e32 v104, v46, v104                              // 000000004204: 16D0D12E
	v_max_f32_e32 v30, v104, v30                               // 000000004208: 163C3D68
	v_rcp_f32_e32 v30, v30                                     // 00000000420C: 7E3C451E
	v_mov_b32_e32 v46, 0x43e00000                              // 000000004210: 7E5C02FF 43E00000
	v_mul_f32_e32 v30, v46, v30                                // 000000004218: 0A3C3D2E
	v_mul_f32_e32 v96, v30, v96                                // 00000000421C: 0AC0C11E
	v_mul_f32_e32 v97, v30, v97                                // 000000004220: 0AC2C31E
	v_mul_f32_e32 v98, v30, v98                                // 000000004224: 0AC4C51E
	v_mul_f32_e32 v99, v30, v99                                // 000000004228: 0AC6C71E
	v_cvt_pk_fp8_f32 v96, v96, v97                             // 00000000422C: D2A20060 0002C360
	v_cvt_pk_fp8_f32 v96, v98, v99 op_sel:[0,0,1]              // 000000004234: D2A24060 0002C762
	v_mul_f32_e32 v100, v30, v100                              // 00000000423C: 0AC8C91E
	v_mul_f32_e32 v101, v30, v101                              // 000000004240: 0ACACB1E
	v_mul_f32_e32 v102, v30, v102                              // 000000004244: 0ACCCD1E
	v_mul_f32_e32 v103, v30, v103                              // 000000004248: 0ACECF1E
	v_cvt_pk_fp8_f32 v97, v100, v101                           // 00000000424C: D2A20061 0002CB64
	v_cvt_pk_fp8_f32 v97, v102, v103 op_sel:[0,0,1]            // 000000004254: D2A24061 0002CF66
	v_rcp_f32_e32 v32, v30                                     // 00000000425C: 7E40451E
	v_lshrrev_b32_e32 v46, 5, v0                               // 000000004260: 205C0085
	v_lshlrev_b32_e32 v47, 6, v46                              // 000000004264: 245E5C86
	v_and_b32_e32 v46, 31, v0                                  // 000000004268: 265C009F
	v_lshrrev_b32_e32 v48, 4, v46                              // 00000000426C: 20605C84
	v_add_u32_e32 v47, v48, v47                                // 000000004270: 685E5F30
	v_and_b32_e32 v46, 15, v0                                  // 000000004274: 265C008F
	v_lshlrev_b32_e32 v46, 1, v46                              // 000000004278: 245C5C81
	v_add_u32_e32 v47, v46, v47                                // 00000000427C: 685E5F2E
	v_lshlrev_b32_e32 v46, 2, v47                              // 000000004280: 245C5E82
	s_mov_b32 s60, 0                                           // 000000004284: BEBC0080
	s_lshr_b32 s61, s7, 1                                      // 000000004288: 8F3D8107
	s_mul_i32 s61, s61, 0x200                                  // 00000000428C: 923DFF3D 00000200
	s_add_u32 s60, s61, s60                                    // 000000004294: 803C3C3D
	s_and_b32 s61, s7, 1                                       // 000000004298: 863D8107
	s_mul_i32 s61, s61, 0x80                                   // 00000000429C: 923DFF3D 00000080
	s_add_u32 s60, s61, s60                                    // 0000000042A4: 803C3C3D
	v_add_u32_e64 v46, v46, s60                                // 0000000042A8: D134002E 0000792E
	ds_write_b32 v46, v96 offset:17152                         // 0000000042B0: D81A4300 0000602E
	ds_write_b32 v46, v97 offset:18176                         // 0000000042B8: D81A4700 0000612E
	s_waitcnt lgkmcnt(0)                                       // 0000000042C0: BF8CC07F
	s_barrier                                                  // 0000000042C4: BF8A0000
	v_and_b32_e32 v46, 31, v0                                  // 0000000042C8: 265C009F
	v_lshrrev_b32_e32 v46, 4, v46                              // 0000000042CC: 205C5C84
	v_lshlrev_b32_e32 v47, 5, v46                              // 0000000042D0: 245E5C85
	v_lshrrev_b32_e32 v46, 5, v0                               // 0000000042D4: 205C0085
	v_lshlrev_b32_e32 v46, 7, v46                              // 0000000042D8: 245C5C87
	v_add_u32_e32 v47, v46, v47                                // 0000000042DC: 685E5F2E
	v_and_b32_e32 v46, 15, v0                                  // 0000000042E0: 265C008F
	v_lshlrev_b32_e32 v46, 1, v46                              // 0000000042E4: 245C5C81
	v_add_u32_e32 v47, v46, v47                                // 0000000042E8: 685E5F2E
	v_lshlrev_b32_e32 v46, 2, v47                              // 0000000042EC: 245C5E82
	ds_read_b64 v[96:97], v46 offset:17152                     // 0000000042F0: D8EC4300 6000002E
	ds_read_b64 v[98:99], v46 offset:17408                     // 0000000042F8: D8EC4400 6200002E
	ds_read_b64 v[100:101], v46 offset:18176                   // 000000004300: D8EC4700 6400002E
	ds_read_b64 v[102:103], v46 offset:18432                   // 000000004308: D8EC4800 6600002E
	s_waitcnt lgkmcnt(0)                                       // 000000004310: BF8CC07F
	s_barrier                                                  // 000000004314: BF8A0000
	v_mov_b32_e32 v112, 0                                      // 000000004318: 7EE00280
	v_mov_b32_e32 v128, 0                                      // 00000000431C: 7F000280
	v_mov_b32_e32 v113, 0                                      // 000000004320: 7EE20280
	v_mov_b32_e32 v129, 0                                      // 000000004324: 7F020280
	v_mov_b32_e32 v114, 0                                      // 000000004328: 7EE40280
	v_mov_b32_e32 v130, 0                                      // 00000000432C: 7F040280
	v_mov_b32_e32 v115, 0                                      // 000000004330: 7EE60280
	v_mov_b32_e32 v131, 0                                      // 000000004334: 7F060280
	v_mov_b32_e32 v116, 0                                      // 000000004338: 7EE80280
	v_mov_b32_e32 v132, 0                                      // 00000000433C: 7F080280
	v_mov_b32_e32 v117, 0                                      // 000000004340: 7EEA0280
	v_mov_b32_e32 v133, 0                                      // 000000004344: 7F0A0280
	v_mov_b32_e32 v118, 0                                      // 000000004348: 7EEC0280
	v_mov_b32_e32 v134, 0                                      // 00000000434C: 7F0C0280
	v_mov_b32_e32 v119, 0                                      // 000000004350: 7EEE0280
	v_mov_b32_e32 v135, 0                                      // 000000004354: 7F0E0280
	v_mov_b32_e32 v120, 0                                      // 000000004358: 7EF00280
	v_mov_b32_e32 v136, 0                                      // 00000000435C: 7F100280
	v_mov_b32_e32 v121, 0                                      // 000000004360: 7EF20280
	v_mov_b32_e32 v137, 0                                      // 000000004364: 7F120280
	v_mov_b32_e32 v122, 0                                      // 000000004368: 7EF40280
	v_mov_b32_e32 v138, 0                                      // 00000000436C: 7F140280
	v_mov_b32_e32 v123, 0                                      // 000000004370: 7EF60280
	v_mov_b32_e32 v139, 0                                      // 000000004374: 7F160280
	v_mov_b32_e32 v124, 0                                      // 000000004378: 7EF80280
	v_mov_b32_e32 v140, 0                                      // 00000000437C: 7F180280
	v_mov_b32_e32 v125, 0                                      // 000000004380: 7EFA0280
	v_mov_b32_e32 v141, 0                                      // 000000004384: 7F1A0280
	v_mov_b32_e32 v126, 0                                      // 000000004388: 7EFC0280
	v_mov_b32_e32 v142, 0                                      // 00000000438C: 7F1C0280
	v_mov_b32_e32 v127, 0                                      // 000000004390: 7EFE0280
	v_mov_b32_e32 v143, 0                                      // 000000004394: 7F1E0280
	ds_write_b64 v4, v[112:113] offset:17152                   // 000000004398: D89A4300 00007004
	ds_write_b64 v4, v[114:115] offset:19328                   // 0000000043A0: D89A4B80 00007204
	ds_write_b64 v4, v[116:117] offset:21504                   // 0000000043A8: D89A5400 00007404
	ds_write_b64 v4, v[118:119] offset:23680                   // 0000000043B0: D89A5C80 00007604
	s_mov_b32 s80, 0                                           // 0000000043B8: BED00080

00000000000043bc <label_056F>:
	s_waitcnt vmcnt(13) lgkmcnt(0)                             // 0000000043BC: BF8C007D
	s_barrier                                                  // 0000000043C0: BF8A0000
	v_mfma_f32_16x16x128_f8f6f4 v[112:115], a[0:7], v[96:103], 0// 0000000043C4: D3AD0070 0A02C100
	ds_read_b32 v64, v5 offset:17152                           // 0000000043CC: D86C4300 40000005
	ds_read_b32 v65, v5 offset:21504                           // 0000000043D4: D86C5400 41000005
	ds_read_b32 v66, v5 offset:17160                           // 0000000043DC: D86C4308 42000005
	ds_read_b32 v67, v5 offset:21512                           // 0000000043E4: D86C5408 43000005
	ds_read_b32 v68, v5 offset:17184                           // 0000000043EC: D86C4320 44000005
	ds_read_b32 v69, v5 offset:21536                           // 0000000043F4: D86C5420 45000005
	ds_read_b32 v70, v5 offset:17192                           // 0000000043FC: D86C4328 46000005
	ds_read_b32 v71, v5 offset:21544                           // 000000004404: D86C5428 47000005
	v_mfma_f32_16x16x128_f8f6f4 v[116:119], a[8:15], v[96:103], 0// 00000000440C: D3AD0074 0A02C108
	buffer_load_dword v23, v6, s[16:19], 0 offen               // 000000004414: E0501000 80041706
	buffer_load_dwordx4 a[64:67], v38, s[12:15], 0 offen       // 00000000441C: E05C1000 80834026
	buffer_load_dwordx4 a[68:71], v38, s[12:15], 0 offen offset:1024// 000000004424: E05C1400 80834426
	buffer_load_dwordx4 a[72:75], v39, s[12:15], 0 offen       // 00000000442C: E05C1000 80834827
	buffer_load_dwordx4 a[76:79], v39, s[12:15], 0 offen offset:1024// 000000004434: E05C1400 80834C27
	s_waitcnt vmcnt(13)                                        // 00000000443C: BF8C0F7D
	v_mfma_f32_16x16x128_f8f6f4 v[120:123], a[16:23], v[96:103], 0// 000000004440: D3AD0078 0A02C110
	ds_write_b64 v4, v[128:129] offset:34560                   // 000000004448: D89A8700 00008004
	ds_write_b64 v4, v[130:131] offset:36736                   // 000000004450: D89A8F80 00008204
	ds_write_b64 v4, v[132:133] offset:38912                   // 000000004458: D89A9800 00008404
	ds_write_b64 v4, v[134:135] offset:41088                   // 000000004460: D89AA080 00008604
	v_mfma_f32_16x16x128_f8f6f4 v[124:127], a[24:31], v[96:103], 0// 000000004468: D3AD007C 0A02C118
	buffer_load_dwordx4 a[80:83], v40, s[12:15], 0 offen       // 000000004470: E05C1000 80835028
	buffer_load_dwordx4 a[84:87], v40, s[12:15], 0 offen offset:1024// 000000004478: E05C1400 80835428
	buffer_load_dwordx4 a[88:91], v41, s[12:15], 0 offen       // 000000004480: E05C1000 80835829
	buffer_load_dwordx4 a[92:95], v41, s[12:15], 0 offen offset:1024// 000000004488: E05C1400 80835C29
	v_mul_f32_dpp v46, v21, v32 row_newbcast:0 row_mask:0xf bank_mask:0xf// 000000004490: 0A5C40FA FF015015
	v_mov_b32_e32 v47, v46                                     // 000000004498: 7E5E032E
	v_pk_mul_f32 v[112:113], v[46:47], v[112:113]              // 00000000449C: D3B14070 1802E12E
	v_pk_mul_f32 v[114:115], v[46:47], v[114:115]              // 0000000044A4: D3B14072 1802E52E
	v_pk_mul_f32 v[116:117], v[46:47], v[116:117]              // 0000000044AC: D3B14074 1802E92E
	v_pk_mul_f32 v[118:119], v[46:47], v[118:119]              // 0000000044B4: D3B14076 1802ED2E
	v_mul_f32_dpp v46, v21, v32 row_newbcast:1 row_mask:0xf bank_mask:0xf// 0000000044BC: 0A5C40FA FF015115
	v_mov_b32_e32 v47, v46                                     // 0000000044C4: 7E5E032E
	v_pk_mul_f32 v[120:121], v[46:47], v[120:121]              // 0000000044C8: D3B14078 1802F12E
	v_pk_mul_f32 v[122:123], v[46:47], v[122:123]              // 0000000044D0: D3B1407A 1802F52E
	v_pk_mul_f32 v[124:125], v[46:47], v[124:125]              // 0000000044D8: D3B1407C 1802F92E
	v_pk_mul_f32 v[126:127], v[46:47], v[126:127]              // 0000000044E0: D3B1407E 1802FD2E
	s_add_u32 s60, 0x300, s80                                  // 0000000044E8: 803C50FF 00000300
	s_cmp_lt_u32 s60, s81                                      // 0000000044F0: BF0A513C
	s_cselect_b32 s56, s56, 0                                  // 0000000044F4: 85388038
	s_cselect_b32 s78, s78, 0                                  // 0000000044F8: 854E804E
	s_cselect_b32 s79, s79, 0                                  // 0000000044FC: 854F804F
	s_add_u32 s12, s56, s12                                    // 000000004500: 800C0C38
	s_addc_u32 s13, 0, s13                                     // 000000004504: 820D0D80
	s_add_u32 s16, s79, s16                                    // 000000004508: 8010104F
	s_addc_u32 s17, 0, s17                                     // 00000000450C: 82111180
	v_mov_b32_e32 v46, v27                                     // 000000004510: 7E5C031B
	v_mov_b32_e32 v47, v27                                     // 000000004514: 7E5E031B
	v_pk_mul_f32 v[112:113], v[46:47], v[112:113]              // 000000004518: D3B14070 1802E12E
	v_pk_mul_f32 v[114:115], v[46:47], v[114:115]              // 000000004520: D3B14072 1802E52E
	v_pk_mul_f32 v[116:117], v[46:47], v[116:117]              // 000000004528: D3B14074 1802E92E
	v_pk_mul_f32 v[118:119], v[46:47], v[118:119]              // 000000004530: D3B14076 1802ED2E
	v_pk_mul_f32 v[120:121], v[46:47], v[120:121]              // 000000004538: D3B14078 1802F12E
	v_pk_mul_f32 v[122:123], v[46:47], v[122:123]              // 000000004540: D3B1407A 1802F52E
	v_pk_mul_f32 v[124:125], v[46:47], v[124:125]              // 000000004548: D3B1407C 1802F92E
	v_pk_mul_f32 v[126:127], v[46:47], v[126:127]              // 000000004550: D3B1407E 1802FD2E
	v_cvt_pk_bf16_f32 v112, v112, v113                         // 000000004558: D2680070 0002E370
	v_cvt_pk_bf16_f32 v113, v114, v115                         // 000000004560: D2680071 0002E772
	v_cvt_pk_bf16_f32 v114, v116, v117                         // 000000004568: D2680072 0002EB74
	v_cvt_pk_bf16_f32 v115, v118, v119                         // 000000004570: D2680073 0002EF76
	v_cvt_pk_bf16_f32 v116, v120, v121                         // 000000004578: D2680074 0002F378
	v_cvt_pk_bf16_f32 v117, v122, v123                         // 000000004580: D2680075 0002F77A
	v_cvt_pk_bf16_f32 v118, v124, v125                         // 000000004588: D2680076 0002FB7C
	v_cvt_pk_bf16_f32 v119, v126, v127                         // 000000004590: D2680077 0002FF7E
	s_cmp_ge_u32 s80, 0x200                                    // 000000004598: BF09FF50 00000200
	s_cselect_b32 s59, 0x200, s59                              // 0000000045A0: 853B3BFF 00000200
	s_waitcnt lgkmcnt(0)                                       // 0000000045A8: BF8CC07F
	s_barrier                                                  // 0000000045AC: BF8A0000
	s_setvskip s20, 0                                          // 0000000045B0: BF108014
	global_atomic_pk_add_bf16 v80, v64, s[8:9]                 // 0000000045B4: DD488000 00084050
	s_setvskip 0, 0                                            // 0000000045BC: BF108080
	s_setvskip s20, 0                                          // 0000000045C0: BF108014
	global_atomic_pk_add_bf16 v80, v65, s[8:9] offset:256      // 0000000045C4: DD488100 00084150
	s_setvskip 0, 0                                            // 0000000045CC: BF108080
	s_setvskip s20, 1                                          // 0000000045D0: BF108114
	global_atomic_pk_add_bf16 v82, v66, s[8:9]                 // 0000000045D4: DD488000 00084252
	s_setvskip 0, 0                                            // 0000000045DC: BF108080
	s_setvskip s20, 1                                          // 0000000045E0: BF108114
	global_atomic_pk_add_bf16 v82, v67, s[8:9] offset:256      // 0000000045E4: DD488100 00084352
	s_setvskip 0, 0                                            // 0000000045EC: BF108080
	s_setvskip s20, 2                                          // 0000000045F0: BF108214
	global_atomic_pk_add_bf16 v84, v68, s[8:9]                 // 0000000045F4: DD488000 00084454
	s_setvskip 0, 0                                            // 0000000045FC: BF108080
	s_setvskip s20, 2                                          // 000000004600: BF108214
	global_atomic_pk_add_bf16 v84, v69, s[8:9] offset:256      // 000000004604: DD488100 00084554
	s_setvskip 0, 0                                            // 00000000460C: BF108080
	s_setvskip s20, 3                                          // 000000004610: BF108314
	global_atomic_pk_add_bf16 v86, v70, s[8:9]                 // 000000004614: DD488000 00084656
	s_setvskip 0, 0                                            // 00000000461C: BF108080
	s_setvskip s20, 3                                          // 000000004620: BF108314
	global_atomic_pk_add_bf16 v86, v71, s[8:9] offset:256      // 000000004624: DD488100 00084756
	s_setvskip 0, 0                                            // 00000000462C: BF108080
	s_add_u32 s8, s59, s8                                      // 000000004630: 8008083B
	s_addc_u32 s9, 0, s9                                       // 000000004634: 82090980
	s_addk_i32 s80, 0x100                                      // 000000004638: B7500100
	s_cmp_lt_i32 s80, s81                                      // 00000000463C: BF045150
	s_cbranch_scc0 label_093C                                  // 000000004640: BF84032B
	s_waitcnt vmcnt(13) lgkmcnt(0)                             // 000000004644: BF8C007D
	s_barrier                                                  // 000000004648: BF8A0000
	v_mfma_f32_16x16x128_f8f6f4 v[128:131], a[32:39], v[96:103], 0// 00000000464C: D3AD0080 0A02C120
	ds_read_b32 v64, v5 offset:34560                           // 000000004654: D86C8700 40000005
	ds_read_b32 v65, v5 offset:38912                           // 00000000465C: D86C9800 41000005
	ds_read_b32 v66, v5 offset:34568                           // 000000004664: D86C8708 42000005
	ds_read_b32 v67, v5 offset:38920                           // 00000000466C: D86C9808 43000005
	ds_read_b32 v68, v5 offset:34592                           // 000000004674: D86C8720 44000005
	ds_read_b32 v69, v5 offset:38944                           // 00000000467C: D86C9820 45000005
	ds_read_b32 v70, v5 offset:34600                           // 000000004684: D86C8728 46000005
	ds_read_b32 v71, v5 offset:38952                           // 00000000468C: D86C9828 47000005
	v_mfma_f32_16x16x128_f8f6f4 v[132:135], a[40:47], v[96:103], 0// 000000004694: D3AD0084 0A02C128
	buffer_load_dword v21, v6, s[16:19], 0 offen               // 00000000469C: E0501000 80041506
	buffer_load_dwordx4 a[0:3], v38, s[12:15], 0 offen         // 0000000046A4: E05C1000 80830026
	buffer_load_dwordx4 a[4:7], v38, s[12:15], 0 offen offset:1024// 0000000046AC: E05C1400 80830426
	buffer_load_dwordx4 a[8:11], v39, s[12:15], 0 offen        // 0000000046B4: E05C1000 80830827
	buffer_load_dwordx4 a[12:15], v39, s[12:15], 0 offen offset:1024// 0000000046BC: E05C1400 80830C27
	s_waitcnt vmcnt(13)                                        // 0000000046C4: BF8C0F7D
	v_mfma_f32_16x16x128_f8f6f4 v[136:139], a[48:55], v[96:103], 0// 0000000046C8: D3AD0088 0A02C130
	ds_write_b64 v4, v[112:113] offset:17152                   // 0000000046D0: D89A4300 00007004
	ds_write_b64 v4, v[114:115] offset:19328                   // 0000000046D8: D89A4B80 00007204
	ds_write_b64 v4, v[116:117] offset:21504                   // 0000000046E0: D89A5400 00007404
	ds_write_b64 v4, v[118:119] offset:23680                   // 0000000046E8: D89A5C80 00007604
	v_mfma_f32_16x16x128_f8f6f4 v[140:143], a[56:63], v[96:103], 0// 0000000046F0: D3AD008C 0A02C138
	buffer_load_dwordx4 a[16:19], v40, s[12:15], 0 offen       // 0000000046F8: E05C1000 80831028
	buffer_load_dwordx4 a[20:23], v40, s[12:15], 0 offen offset:1024// 000000004700: E05C1400 80831428
	buffer_load_dwordx4 a[24:27], v41, s[12:15], 0 offen       // 000000004708: E05C1000 80831829
	buffer_load_dwordx4 a[28:31], v41, s[12:15], 0 offen offset:1024// 000000004710: E05C1400 80831C29
	v_mul_f32_dpp v46, v22, v32 row_newbcast:0 row_mask:0xf bank_mask:0xf// 000000004718: 0A5C40FA FF015016
	v_mov_b32_e32 v47, v46                                     // 000000004720: 7E5E032E
	v_pk_mul_f32 v[128:129], v[46:47], v[128:129]              // 000000004724: D3B14080 1803012E
	v_pk_mul_f32 v[130:131], v[46:47], v[130:131]              // 00000000472C: D3B14082 1803052E
	v_pk_mul_f32 v[132:133], v[46:47], v[132:133]              // 000000004734: D3B14084 1803092E
	v_pk_mul_f32 v[134:135], v[46:47], v[134:135]              // 00000000473C: D3B14086 18030D2E
	v_mul_f32_dpp v46, v22, v32 row_newbcast:1 row_mask:0xf bank_mask:0xf// 000000004744: 0A5C40FA FF015116
	v_mov_b32_e32 v47, v46                                     // 00000000474C: 7E5E032E
	v_pk_mul_f32 v[136:137], v[46:47], v[136:137]              // 000000004750: D3B14088 1803112E
	v_pk_mul_f32 v[138:139], v[46:47], v[138:139]              // 000000004758: D3B1408A 1803152E
	v_pk_mul_f32 v[140:141], v[46:47], v[140:141]              // 000000004760: D3B1408C 1803192E
	v_pk_mul_f32 v[142:143], v[46:47], v[142:143]              // 000000004768: D3B1408E 18031D2E
	s_add_u32 s60, 0x300, s80                                  // 000000004770: 803C50FF 00000300
	s_cmp_lt_u32 s60, s81                                      // 000000004778: BF0A513C
	s_cselect_b32 s56, s56, 0                                  // 00000000477C: 85388038
	s_cselect_b32 s78, s78, 0                                  // 000000004780: 854E804E
	s_cselect_b32 s79, s79, 0                                  // 000000004784: 854F804F
	s_add_u32 s12, s56, s12                                    // 000000004788: 800C0C38
	s_addc_u32 s13, 0, s13                                     // 00000000478C: 820D0D80
	s_add_u32 s16, s79, s16                                    // 000000004790: 8010104F
	s_addc_u32 s17, 0, s17                                     // 000000004794: 82111180
	v_mov_b32_e32 v46, v27                                     // 000000004798: 7E5C031B
	v_mov_b32_e32 v47, v27                                     // 00000000479C: 7E5E031B
	v_pk_mul_f32 v[128:129], v[46:47], v[128:129]              // 0000000047A0: D3B14080 1803012E
	v_pk_mul_f32 v[130:131], v[46:47], v[130:131]              // 0000000047A8: D3B14082 1803052E
	v_pk_mul_f32 v[132:133], v[46:47], v[132:133]              // 0000000047B0: D3B14084 1803092E
	v_pk_mul_f32 v[134:135], v[46:47], v[134:135]              // 0000000047B8: D3B14086 18030D2E
	v_pk_mul_f32 v[136:137], v[46:47], v[136:137]              // 0000000047C0: D3B14088 1803112E
	v_pk_mul_f32 v[138:139], v[46:47], v[138:139]              // 0000000047C8: D3B1408A 1803152E
	v_pk_mul_f32 v[140:141], v[46:47], v[140:141]              // 0000000047D0: D3B1408C 1803192E
	v_pk_mul_f32 v[142:143], v[46:47], v[142:143]              // 0000000047D8: D3B1408E 18031D2E
	v_cvt_pk_bf16_f32 v128, v128, v129                         // 0000000047E0: D2680080 00030380
	v_cvt_pk_bf16_f32 v129, v130, v131                         // 0000000047E8: D2680081 00030782
	v_cvt_pk_bf16_f32 v130, v132, v133                         // 0000000047F0: D2680082 00030B84
	v_cvt_pk_bf16_f32 v131, v134, v135                         // 0000000047F8: D2680083 00030F86
	v_cvt_pk_bf16_f32 v132, v136, v137                         // 000000004800: D2680084 00031388
	v_cvt_pk_bf16_f32 v133, v138, v139                         // 000000004808: D2680085 0003178A
	v_cvt_pk_bf16_f32 v134, v140, v141                         // 000000004810: D2680086 00031B8C
	v_cvt_pk_bf16_f32 v135, v142, v143                         // 000000004818: D2680087 00031F8E
	s_cmp_ge_u32 s80, 0x200                                    // 000000004820: BF09FF50 00000200
	s_cselect_b32 s59, 0x200, s59                              // 000000004828: 853B3BFF 00000200
	s_waitcnt lgkmcnt(0)                                       // 000000004830: BF8CC07F
	s_barrier                                                  // 000000004834: BF8A0000
	s_setvskip s20, 0                                          // 000000004838: BF108014
	global_atomic_pk_add_bf16 v80, v64, s[8:9]                 // 00000000483C: DD488000 00084050
	s_setvskip 0, 0                                            // 000000004844: BF108080
	s_setvskip s20, 0                                          // 000000004848: BF108014
	global_atomic_pk_add_bf16 v80, v65, s[8:9] offset:256      // 00000000484C: DD488100 00084150
	s_setvskip 0, 0                                            // 000000004854: BF108080
	s_setvskip s20, 1                                          // 000000004858: BF108114
	global_atomic_pk_add_bf16 v82, v66, s[8:9]                 // 00000000485C: DD488000 00084252
	s_setvskip 0, 0                                            // 000000004864: BF108080
	s_setvskip s20, 1                                          // 000000004868: BF108114
	global_atomic_pk_add_bf16 v82, v67, s[8:9] offset:256      // 00000000486C: DD488100 00084352
	s_setvskip 0, 0                                            // 000000004874: BF108080
	s_setvskip s20, 2                                          // 000000004878: BF108214
	global_atomic_pk_add_bf16 v84, v68, s[8:9]                 // 00000000487C: DD488000 00084454
	s_setvskip 0, 0                                            // 000000004884: BF108080
	s_setvskip s20, 2                                          // 000000004888: BF108214
	global_atomic_pk_add_bf16 v84, v69, s[8:9] offset:256      // 00000000488C: DD488100 00084554
	s_setvskip 0, 0                                            // 000000004894: BF108080
	s_setvskip s20, 3                                          // 000000004898: BF108314
	global_atomic_pk_add_bf16 v86, v70, s[8:9]                 // 00000000489C: DD488000 00084656
	s_setvskip 0, 0                                            // 0000000048A4: BF108080
	s_setvskip s20, 3                                          // 0000000048A8: BF108314
	global_atomic_pk_add_bf16 v86, v71, s[8:9] offset:256      // 0000000048AC: DD488100 00084756
	s_setvskip 0, 0                                            // 0000000048B4: BF108080
	s_add_u32 s8, s59, s8                                      // 0000000048B8: 8008083B
	s_addc_u32 s9, 0, s9                                       // 0000000048BC: 82090980
	s_addk_i32 s80, 0x100                                      // 0000000048C0: B7500100
	s_cmp_lt_i32 s80, s81                                      // 0000000048C4: BF045150
	s_cbranch_scc0 label_093C                                  // 0000000048C8: BF840289
	s_waitcnt vmcnt(13) lgkmcnt(0)                             // 0000000048CC: BF8C007D
	s_barrier                                                  // 0000000048D0: BF8A0000
	v_mfma_f32_16x16x128_f8f6f4 v[112:115], a[64:71], v[96:103], 0// 0000000048D4: D3AD0070 0A02C140
	ds_read_b32 v64, v5 offset:17152                           // 0000000048DC: D86C4300 40000005
	ds_read_b32 v65, v5 offset:21504                           // 0000000048E4: D86C5400 41000005
	ds_read_b32 v66, v5 offset:17160                           // 0000000048EC: D86C4308 42000005
	ds_read_b32 v67, v5 offset:21512                           // 0000000048F4: D86C5408 43000005
	ds_read_b32 v68, v5 offset:17184                           // 0000000048FC: D86C4320 44000005
	ds_read_b32 v69, v5 offset:21536                           // 000000004904: D86C5420 45000005
	ds_read_b32 v70, v5 offset:17192                           // 00000000490C: D86C4328 46000005
	ds_read_b32 v71, v5 offset:21544                           // 000000004914: D86C5428 47000005
	v_mfma_f32_16x16x128_f8f6f4 v[116:119], a[72:79], v[96:103], 0// 00000000491C: D3AD0074 0A02C148
	buffer_load_dword v22, v6, s[16:19], 0 offen               // 000000004924: E0501000 80041606
	buffer_load_dwordx4 a[32:35], v38, s[12:15], 0 offen       // 00000000492C: E05C1000 80832026
	buffer_load_dwordx4 a[36:39], v38, s[12:15], 0 offen offset:1024// 000000004934: E05C1400 80832426
	buffer_load_dwordx4 a[40:43], v39, s[12:15], 0 offen       // 00000000493C: E05C1000 80832827
	buffer_load_dwordx4 a[44:47], v39, s[12:15], 0 offen offset:1024// 000000004944: E05C1400 80832C27
	s_waitcnt vmcnt(13)                                        // 00000000494C: BF8C0F7D
	v_mfma_f32_16x16x128_f8f6f4 v[120:123], a[80:87], v[96:103], 0// 000000004950: D3AD0078 0A02C150
	ds_write_b64 v4, v[128:129] offset:34560                   // 000000004958: D89A8700 00008004
	ds_write_b64 v4, v[130:131] offset:36736                   // 000000004960: D89A8F80 00008204
	ds_write_b64 v4, v[132:133] offset:38912                   // 000000004968: D89A9800 00008404
	ds_write_b64 v4, v[134:135] offset:41088                   // 000000004970: D89AA080 00008604
	v_mfma_f32_16x16x128_f8f6f4 v[124:127], a[88:95], v[96:103], 0// 000000004978: D3AD007C 0A02C158
	buffer_load_dwordx4 a[48:51], v40, s[12:15], 0 offen       // 000000004980: E05C1000 80833028
	buffer_load_dwordx4 a[52:55], v40, s[12:15], 0 offen offset:1024// 000000004988: E05C1400 80833428
	buffer_load_dwordx4 a[56:59], v41, s[12:15], 0 offen       // 000000004990: E05C1000 80833829
	buffer_load_dwordx4 a[60:63], v41, s[12:15], 0 offen offset:1024// 000000004998: E05C1400 80833C29
	v_mul_f32_dpp v46, v23, v32 row_newbcast:0 row_mask:0xf bank_mask:0xf// 0000000049A0: 0A5C40FA FF015017
	v_mov_b32_e32 v47, v46                                     // 0000000049A8: 7E5E032E
	v_pk_mul_f32 v[112:113], v[46:47], v[112:113]              // 0000000049AC: D3B14070 1802E12E
	v_pk_mul_f32 v[114:115], v[46:47], v[114:115]              // 0000000049B4: D3B14072 1802E52E
	v_pk_mul_f32 v[116:117], v[46:47], v[116:117]              // 0000000049BC: D3B14074 1802E92E
	v_pk_mul_f32 v[118:119], v[46:47], v[118:119]              // 0000000049C4: D3B14076 1802ED2E
	v_mul_f32_dpp v46, v23, v32 row_newbcast:1 row_mask:0xf bank_mask:0xf// 0000000049CC: 0A5C40FA FF015117
	v_mov_b32_e32 v47, v46                                     // 0000000049D4: 7E5E032E
	v_pk_mul_f32 v[120:121], v[46:47], v[120:121]              // 0000000049D8: D3B14078 1802F12E
	v_pk_mul_f32 v[122:123], v[46:47], v[122:123]              // 0000000049E0: D3B1407A 1802F52E
	v_pk_mul_f32 v[124:125], v[46:47], v[124:125]              // 0000000049E8: D3B1407C 1802F92E
	v_pk_mul_f32 v[126:127], v[46:47], v[126:127]              // 0000000049F0: D3B1407E 1802FD2E
	s_add_u32 s60, 0x300, s80                                  // 0000000049F8: 803C50FF 00000300
	s_cmp_lt_u32 s60, s81                                      // 000000004A00: BF0A513C
	s_cselect_b32 s56, s56, 0                                  // 000000004A04: 85388038
	s_cselect_b32 s78, s78, 0                                  // 000000004A08: 854E804E
	s_cselect_b32 s79, s79, 0                                  // 000000004A0C: 854F804F
	s_add_u32 s12, s56, s12                                    // 000000004A10: 800C0C38
	s_addc_u32 s13, 0, s13                                     // 000000004A14: 820D0D80
	s_add_u32 s16, s79, s16                                    // 000000004A18: 8010104F
	s_addc_u32 s17, 0, s17                                     // 000000004A1C: 82111180
	v_mov_b32_e32 v46, v27                                     // 000000004A20: 7E5C031B
	v_mov_b32_e32 v47, v27                                     // 000000004A24: 7E5E031B
	v_pk_mul_f32 v[112:113], v[46:47], v[112:113]              // 000000004A28: D3B14070 1802E12E
	v_pk_mul_f32 v[114:115], v[46:47], v[114:115]              // 000000004A30: D3B14072 1802E52E
	v_pk_mul_f32 v[116:117], v[46:47], v[116:117]              // 000000004A38: D3B14074 1802E92E
	v_pk_mul_f32 v[118:119], v[46:47], v[118:119]              // 000000004A40: D3B14076 1802ED2E
	v_pk_mul_f32 v[120:121], v[46:47], v[120:121]              // 000000004A48: D3B14078 1802F12E
	v_pk_mul_f32 v[122:123], v[46:47], v[122:123]              // 000000004A50: D3B1407A 1802F52E
	v_pk_mul_f32 v[124:125], v[46:47], v[124:125]              // 000000004A58: D3B1407C 1802F92E
	v_pk_mul_f32 v[126:127], v[46:47], v[126:127]              // 000000004A60: D3B1407E 1802FD2E
	v_cvt_pk_bf16_f32 v112, v112, v113                         // 000000004A68: D2680070 0002E370
	v_cvt_pk_bf16_f32 v113, v114, v115                         // 000000004A70: D2680071 0002E772
	v_cvt_pk_bf16_f32 v114, v116, v117                         // 000000004A78: D2680072 0002EB74
	v_cvt_pk_bf16_f32 v115, v118, v119                         // 000000004A80: D2680073 0002EF76
	v_cvt_pk_bf16_f32 v116, v120, v121                         // 000000004A88: D2680074 0002F378
	v_cvt_pk_bf16_f32 v117, v122, v123                         // 000000004A90: D2680075 0002F77A
	v_cvt_pk_bf16_f32 v118, v124, v125                         // 000000004A98: D2680076 0002FB7C
	v_cvt_pk_bf16_f32 v119, v126, v127                         // 000000004AA0: D2680077 0002FF7E
	s_cmp_ge_u32 s80, 0x200                                    // 000000004AA8: BF09FF50 00000200
	s_cselect_b32 s59, 0x200, s59                              // 000000004AB0: 853B3BFF 00000200
	s_waitcnt lgkmcnt(0)                                       // 000000004AB8: BF8CC07F
	s_barrier                                                  // 000000004ABC: BF8A0000
	s_setvskip s20, 0                                          // 000000004AC0: BF108014
	global_atomic_pk_add_bf16 v80, v64, s[8:9]                 // 000000004AC4: DD488000 00084050
	s_setvskip 0, 0                                            // 000000004ACC: BF108080
	s_setvskip s20, 0                                          // 000000004AD0: BF108014
	global_atomic_pk_add_bf16 v80, v65, s[8:9] offset:256      // 000000004AD4: DD488100 00084150
	s_setvskip 0, 0                                            // 000000004ADC: BF108080
	s_setvskip s20, 1                                          // 000000004AE0: BF108114
	global_atomic_pk_add_bf16 v82, v66, s[8:9]                 // 000000004AE4: DD488000 00084252
	s_setvskip 0, 0                                            // 000000004AEC: BF108080
	s_setvskip s20, 1                                          // 000000004AF0: BF108114
	global_atomic_pk_add_bf16 v82, v67, s[8:9] offset:256      // 000000004AF4: DD488100 00084352
	s_setvskip 0, 0                                            // 000000004AFC: BF108080
	s_setvskip s20, 2                                          // 000000004B00: BF108214
	global_atomic_pk_add_bf16 v84, v68, s[8:9]                 // 000000004B04: DD488000 00084454
	s_setvskip 0, 0                                            // 000000004B0C: BF108080
	s_setvskip s20, 2                                          // 000000004B10: BF108214
	global_atomic_pk_add_bf16 v84, v69, s[8:9] offset:256      // 000000004B14: DD488100 00084554
	s_setvskip 0, 0                                            // 000000004B1C: BF108080
	s_setvskip s20, 3                                          // 000000004B20: BF108314
	global_atomic_pk_add_bf16 v86, v70, s[8:9]                 // 000000004B24: DD488000 00084656
	s_setvskip 0, 0                                            // 000000004B2C: BF108080
	s_setvskip s20, 3                                          // 000000004B30: BF108314
	global_atomic_pk_add_bf16 v86, v71, s[8:9] offset:256      // 000000004B34: DD488100 00084756
	s_setvskip 0, 0                                            // 000000004B3C: BF108080
	s_add_u32 s8, s59, s8                                      // 000000004B40: 8008083B
	s_addc_u32 s9, 0, s9                                       // 000000004B44: 82090980
	s_addk_i32 s80, 0x100                                      // 000000004B48: B7500100
	s_cmp_lt_i32 s80, s81                                      // 000000004B4C: BF045150
	s_cbranch_scc0 label_093C                                  // 000000004B50: BF8401E7
	s_waitcnt vmcnt(13) lgkmcnt(0)                             // 000000004B54: BF8C007D
	s_barrier                                                  // 000000004B58: BF8A0000
	v_mfma_f32_16x16x128_f8f6f4 v[128:131], a[0:7], v[96:103], 0// 000000004B5C: D3AD0080 0A02C100
	ds_read_b32 v64, v5 offset:34560                           // 000000004B64: D86C8700 40000005
	ds_read_b32 v65, v5 offset:38912                           // 000000004B6C: D86C9800 41000005
	ds_read_b32 v66, v5 offset:34568                           // 000000004B74: D86C8708 42000005
	ds_read_b32 v67, v5 offset:38920                           // 000000004B7C: D86C9808 43000005
	ds_read_b32 v68, v5 offset:34592                           // 000000004B84: D86C8720 44000005
	ds_read_b32 v69, v5 offset:38944                           // 000000004B8C: D86C9820 45000005
	ds_read_b32 v70, v5 offset:34600                           // 000000004B94: D86C8728 46000005
	ds_read_b32 v71, v5 offset:38952                           // 000000004B9C: D86C9828 47000005
	v_mfma_f32_16x16x128_f8f6f4 v[132:135], a[8:15], v[96:103], 0// 000000004BA4: D3AD0084 0A02C108
	buffer_load_dword v23, v6, s[16:19], 0 offen               // 000000004BAC: E0501000 80041706
	buffer_load_dwordx4 a[64:67], v38, s[12:15], 0 offen       // 000000004BB4: E05C1000 80834026
	buffer_load_dwordx4 a[68:71], v38, s[12:15], 0 offen offset:1024// 000000004BBC: E05C1400 80834426
	buffer_load_dwordx4 a[72:75], v39, s[12:15], 0 offen       // 000000004BC4: E05C1000 80834827
	buffer_load_dwordx4 a[76:79], v39, s[12:15], 0 offen offset:1024// 000000004BCC: E05C1400 80834C27
	s_waitcnt vmcnt(13)                                        // 000000004BD4: BF8C0F7D
	v_mfma_f32_16x16x128_f8f6f4 v[136:139], a[16:23], v[96:103], 0// 000000004BD8: D3AD0088 0A02C110
	ds_write_b64 v4, v[112:113] offset:17152                   // 000000004BE0: D89A4300 00007004
	ds_write_b64 v4, v[114:115] offset:19328                   // 000000004BE8: D89A4B80 00007204
	ds_write_b64 v4, v[116:117] offset:21504                   // 000000004BF0: D89A5400 00007404
	ds_write_b64 v4, v[118:119] offset:23680                   // 000000004BF8: D89A5C80 00007604
	v_mfma_f32_16x16x128_f8f6f4 v[140:143], a[24:31], v[96:103], 0// 000000004C00: D3AD008C 0A02C118
	buffer_load_dwordx4 a[80:83], v40, s[12:15], 0 offen       // 000000004C08: E05C1000 80835028
	buffer_load_dwordx4 a[84:87], v40, s[12:15], 0 offen offset:1024// 000000004C10: E05C1400 80835428
	buffer_load_dwordx4 a[88:91], v41, s[12:15], 0 offen       // 000000004C18: E05C1000 80835829
	buffer_load_dwordx4 a[92:95], v41, s[12:15], 0 offen offset:1024// 000000004C20: E05C1400 80835C29
	v_mul_f32_dpp v46, v21, v32 row_newbcast:0 row_mask:0xf bank_mask:0xf// 000000004C28: 0A5C40FA FF015015
	v_mov_b32_e32 v47, v46                                     // 000000004C30: 7E5E032E
	v_pk_mul_f32 v[128:129], v[46:47], v[128:129]              // 000000004C34: D3B14080 1803012E
	v_pk_mul_f32 v[130:131], v[46:47], v[130:131]              // 000000004C3C: D3B14082 1803052E
	v_pk_mul_f32 v[132:133], v[46:47], v[132:133]              // 000000004C44: D3B14084 1803092E
	v_pk_mul_f32 v[134:135], v[46:47], v[134:135]              // 000000004C4C: D3B14086 18030D2E
	v_mul_f32_dpp v46, v21, v32 row_newbcast:1 row_mask:0xf bank_mask:0xf// 000000004C54: 0A5C40FA FF015115
	v_mov_b32_e32 v47, v46                                     // 000000004C5C: 7E5E032E
	v_pk_mul_f32 v[136:137], v[46:47], v[136:137]              // 000000004C60: D3B14088 1803112E
	v_pk_mul_f32 v[138:139], v[46:47], v[138:139]              // 000000004C68: D3B1408A 1803152E
	v_pk_mul_f32 v[140:141], v[46:47], v[140:141]              // 000000004C70: D3B1408C 1803192E
	v_pk_mul_f32 v[142:143], v[46:47], v[142:143]              // 000000004C78: D3B1408E 18031D2E
	s_add_u32 s60, 0x300, s80                                  // 000000004C80: 803C50FF 00000300
	s_cmp_lt_u32 s60, s81                                      // 000000004C88: BF0A513C
	s_cselect_b32 s56, s56, 0                                  // 000000004C8C: 85388038
	s_cselect_b32 s78, s78, 0                                  // 000000004C90: 854E804E
	s_cselect_b32 s79, s79, 0                                  // 000000004C94: 854F804F
	s_add_u32 s12, s56, s12                                    // 000000004C98: 800C0C38
	s_addc_u32 s13, 0, s13                                     // 000000004C9C: 820D0D80
	s_add_u32 s16, s79, s16                                    // 000000004CA0: 8010104F
	s_addc_u32 s17, 0, s17                                     // 000000004CA4: 82111180
	v_mov_b32_e32 v46, v27                                     // 000000004CA8: 7E5C031B
	v_mov_b32_e32 v47, v27                                     // 000000004CAC: 7E5E031B
	v_pk_mul_f32 v[128:129], v[46:47], v[128:129]              // 000000004CB0: D3B14080 1803012E
	v_pk_mul_f32 v[130:131], v[46:47], v[130:131]              // 000000004CB8: D3B14082 1803052E
	v_pk_mul_f32 v[132:133], v[46:47], v[132:133]              // 000000004CC0: D3B14084 1803092E
	v_pk_mul_f32 v[134:135], v[46:47], v[134:135]              // 000000004CC8: D3B14086 18030D2E
	v_pk_mul_f32 v[136:137], v[46:47], v[136:137]              // 000000004CD0: D3B14088 1803112E
	v_pk_mul_f32 v[138:139], v[46:47], v[138:139]              // 000000004CD8: D3B1408A 1803152E
	v_pk_mul_f32 v[140:141], v[46:47], v[140:141]              // 000000004CE0: D3B1408C 1803192E
	v_pk_mul_f32 v[142:143], v[46:47], v[142:143]              // 000000004CE8: D3B1408E 18031D2E
	v_cvt_pk_bf16_f32 v128, v128, v129                         // 000000004CF0: D2680080 00030380
	v_cvt_pk_bf16_f32 v129, v130, v131                         // 000000004CF8: D2680081 00030782
	v_cvt_pk_bf16_f32 v130, v132, v133                         // 000000004D00: D2680082 00030B84
	v_cvt_pk_bf16_f32 v131, v134, v135                         // 000000004D08: D2680083 00030F86
	v_cvt_pk_bf16_f32 v132, v136, v137                         // 000000004D10: D2680084 00031388
	v_cvt_pk_bf16_f32 v133, v138, v139                         // 000000004D18: D2680085 0003178A
	v_cvt_pk_bf16_f32 v134, v140, v141                         // 000000004D20: D2680086 00031B8C
	v_cvt_pk_bf16_f32 v135, v142, v143                         // 000000004D28: D2680087 00031F8E
	s_cmp_ge_u32 s80, 0x200                                    // 000000004D30: BF09FF50 00000200
	s_cselect_b32 s59, 0x200, s59                              // 000000004D38: 853B3BFF 00000200
	s_waitcnt lgkmcnt(0)                                       // 000000004D40: BF8CC07F
	s_barrier                                                  // 000000004D44: BF8A0000
	s_setvskip s20, 0                                          // 000000004D48: BF108014
	global_atomic_pk_add_bf16 v80, v64, s[8:9]                 // 000000004D4C: DD488000 00084050
	s_setvskip 0, 0                                            // 000000004D54: BF108080
	s_setvskip s20, 0                                          // 000000004D58: BF108014
	global_atomic_pk_add_bf16 v80, v65, s[8:9] offset:256      // 000000004D5C: DD488100 00084150
	s_setvskip 0, 0                                            // 000000004D64: BF108080
	s_setvskip s20, 1                                          // 000000004D68: BF108114
	global_atomic_pk_add_bf16 v82, v66, s[8:9]                 // 000000004D6C: DD488000 00084252
	s_setvskip 0, 0                                            // 000000004D74: BF108080
	s_setvskip s20, 1                                          // 000000004D78: BF108114
	global_atomic_pk_add_bf16 v82, v67, s[8:9] offset:256      // 000000004D7C: DD488100 00084352
	s_setvskip 0, 0                                            // 000000004D84: BF108080
	s_setvskip s20, 2                                          // 000000004D88: BF108214
	global_atomic_pk_add_bf16 v84, v68, s[8:9]                 // 000000004D8C: DD488000 00084454
	s_setvskip 0, 0                                            // 000000004D94: BF108080
	s_setvskip s20, 2                                          // 000000004D98: BF108214
	global_atomic_pk_add_bf16 v84, v69, s[8:9] offset:256      // 000000004D9C: DD488100 00084554
	s_setvskip 0, 0                                            // 000000004DA4: BF108080
	s_setvskip s20, 3                                          // 000000004DA8: BF108314
	global_atomic_pk_add_bf16 v86, v70, s[8:9]                 // 000000004DAC: DD488000 00084656
	s_setvskip 0, 0                                            // 000000004DB4: BF108080
	s_setvskip s20, 3                                          // 000000004DB8: BF108314
	global_atomic_pk_add_bf16 v86, v71, s[8:9] offset:256      // 000000004DBC: DD488100 00084756
	s_setvskip 0, 0                                            // 000000004DC4: BF108080
	s_add_u32 s8, s59, s8                                      // 000000004DC8: 8008083B
	s_addc_u32 s9, 0, s9                                       // 000000004DCC: 82090980
	s_addk_i32 s80, 0x100                                      // 000000004DD0: B7500100
	s_cmp_lt_i32 s80, s81                                      // 000000004DD4: BF045150
	s_cbranch_scc0 label_093C                                  // 000000004DD8: BF840145
	s_waitcnt vmcnt(13) lgkmcnt(0)                             // 000000004DDC: BF8C007D
	s_barrier                                                  // 000000004DE0: BF8A0000
	v_mfma_f32_16x16x128_f8f6f4 v[112:115], a[32:39], v[96:103], 0// 000000004DE4: D3AD0070 0A02C120
	ds_read_b32 v64, v5 offset:17152                           // 000000004DEC: D86C4300 40000005
	ds_read_b32 v65, v5 offset:21504                           // 000000004DF4: D86C5400 41000005
	ds_read_b32 v66, v5 offset:17160                           // 000000004DFC: D86C4308 42000005
	ds_read_b32 v67, v5 offset:21512                           // 000000004E04: D86C5408 43000005
	ds_read_b32 v68, v5 offset:17184                           // 000000004E0C: D86C4320 44000005
	ds_read_b32 v69, v5 offset:21536                           // 000000004E14: D86C5420 45000005
	ds_read_b32 v70, v5 offset:17192                           // 000000004E1C: D86C4328 46000005
	ds_read_b32 v71, v5 offset:21544                           // 000000004E24: D86C5428 47000005
	v_mfma_f32_16x16x128_f8f6f4 v[116:119], a[40:47], v[96:103], 0// 000000004E2C: D3AD0074 0A02C128
	buffer_load_dword v21, v6, s[16:19], 0 offen               // 000000004E34: E0501000 80041506
	buffer_load_dwordx4 a[0:3], v38, s[12:15], 0 offen         // 000000004E3C: E05C1000 80830026
	buffer_load_dwordx4 a[4:7], v38, s[12:15], 0 offen offset:1024// 000000004E44: E05C1400 80830426
	buffer_load_dwordx4 a[8:11], v39, s[12:15], 0 offen        // 000000004E4C: E05C1000 80830827
	buffer_load_dwordx4 a[12:15], v39, s[12:15], 0 offen offset:1024// 000000004E54: E05C1400 80830C27
	s_waitcnt vmcnt(13)                                        // 000000004E5C: BF8C0F7D
	v_mfma_f32_16x16x128_f8f6f4 v[120:123], a[48:55], v[96:103], 0// 000000004E60: D3AD0078 0A02C130
	ds_write_b64 v4, v[128:129] offset:34560                   // 000000004E68: D89A8700 00008004
	ds_write_b64 v4, v[130:131] offset:36736                   // 000000004E70: D89A8F80 00008204
	ds_write_b64 v4, v[132:133] offset:38912                   // 000000004E78: D89A9800 00008404
	ds_write_b64 v4, v[134:135] offset:41088                   // 000000004E80: D89AA080 00008604
	v_mfma_f32_16x16x128_f8f6f4 v[124:127], a[56:63], v[96:103], 0// 000000004E88: D3AD007C 0A02C138
	buffer_load_dwordx4 a[16:19], v40, s[12:15], 0 offen       // 000000004E90: E05C1000 80831028
	buffer_load_dwordx4 a[20:23], v40, s[12:15], 0 offen offset:1024// 000000004E98: E05C1400 80831428
	buffer_load_dwordx4 a[24:27], v41, s[12:15], 0 offen       // 000000004EA0: E05C1000 80831829
	buffer_load_dwordx4 a[28:31], v41, s[12:15], 0 offen offset:1024// 000000004EA8: E05C1400 80831C29
	v_mul_f32_dpp v46, v22, v32 row_newbcast:0 row_mask:0xf bank_mask:0xf// 000000004EB0: 0A5C40FA FF015016
	v_mov_b32_e32 v47, v46                                     // 000000004EB8: 7E5E032E
	v_pk_mul_f32 v[112:113], v[46:47], v[112:113]              // 000000004EBC: D3B14070 1802E12E
	v_pk_mul_f32 v[114:115], v[46:47], v[114:115]              // 000000004EC4: D3B14072 1802E52E
	v_pk_mul_f32 v[116:117], v[46:47], v[116:117]              // 000000004ECC: D3B14074 1802E92E
	v_pk_mul_f32 v[118:119], v[46:47], v[118:119]              // 000000004ED4: D3B14076 1802ED2E
	v_mul_f32_dpp v46, v22, v32 row_newbcast:1 row_mask:0xf bank_mask:0xf// 000000004EDC: 0A5C40FA FF015116
	v_mov_b32_e32 v47, v46                                     // 000000004EE4: 7E5E032E
	v_pk_mul_f32 v[120:121], v[46:47], v[120:121]              // 000000004EE8: D3B14078 1802F12E
	v_pk_mul_f32 v[122:123], v[46:47], v[122:123]              // 000000004EF0: D3B1407A 1802F52E
	v_pk_mul_f32 v[124:125], v[46:47], v[124:125]              // 000000004EF8: D3B1407C 1802F92E
	v_pk_mul_f32 v[126:127], v[46:47], v[126:127]              // 000000004F00: D3B1407E 1802FD2E
	s_add_u32 s60, 0x300, s80                                  // 000000004F08: 803C50FF 00000300
	s_cmp_lt_u32 s60, s81                                      // 000000004F10: BF0A513C
	s_cselect_b32 s56, s56, 0                                  // 000000004F14: 85388038
	s_cselect_b32 s78, s78, 0                                  // 000000004F18: 854E804E
	s_cselect_b32 s79, s79, 0                                  // 000000004F1C: 854F804F
	s_add_u32 s12, s56, s12                                    // 000000004F20: 800C0C38
	s_addc_u32 s13, 0, s13                                     // 000000004F24: 820D0D80
	s_add_u32 s16, s79, s16                                    // 000000004F28: 8010104F
	s_addc_u32 s17, 0, s17                                     // 000000004F2C: 82111180
	v_mov_b32_e32 v46, v27                                     // 000000004F30: 7E5C031B
	v_mov_b32_e32 v47, v27                                     // 000000004F34: 7E5E031B
	v_pk_mul_f32 v[112:113], v[46:47], v[112:113]              // 000000004F38: D3B14070 1802E12E
	v_pk_mul_f32 v[114:115], v[46:47], v[114:115]              // 000000004F40: D3B14072 1802E52E
	v_pk_mul_f32 v[116:117], v[46:47], v[116:117]              // 000000004F48: D3B14074 1802E92E
	v_pk_mul_f32 v[118:119], v[46:47], v[118:119]              // 000000004F50: D3B14076 1802ED2E
	v_pk_mul_f32 v[120:121], v[46:47], v[120:121]              // 000000004F58: D3B14078 1802F12E
	v_pk_mul_f32 v[122:123], v[46:47], v[122:123]              // 000000004F60: D3B1407A 1802F52E
	v_pk_mul_f32 v[124:125], v[46:47], v[124:125]              // 000000004F68: D3B1407C 1802F92E
	v_pk_mul_f32 v[126:127], v[46:47], v[126:127]              // 000000004F70: D3B1407E 1802FD2E
	v_cvt_pk_bf16_f32 v112, v112, v113                         // 000000004F78: D2680070 0002E370
	v_cvt_pk_bf16_f32 v113, v114, v115                         // 000000004F80: D2680071 0002E772
	v_cvt_pk_bf16_f32 v114, v116, v117                         // 000000004F88: D2680072 0002EB74
	v_cvt_pk_bf16_f32 v115, v118, v119                         // 000000004F90: D2680073 0002EF76
	v_cvt_pk_bf16_f32 v116, v120, v121                         // 000000004F98: D2680074 0002F378
	v_cvt_pk_bf16_f32 v117, v122, v123                         // 000000004FA0: D2680075 0002F77A
	v_cvt_pk_bf16_f32 v118, v124, v125                         // 000000004FA8: D2680076 0002FB7C
	v_cvt_pk_bf16_f32 v119, v126, v127                         // 000000004FB0: D2680077 0002FF7E
	s_cmp_ge_u32 s80, 0x200                                    // 000000004FB8: BF09FF50 00000200
	s_cselect_b32 s59, 0x200, s59                              // 000000004FC0: 853B3BFF 00000200
	s_waitcnt lgkmcnt(0)                                       // 000000004FC8: BF8CC07F
	s_barrier                                                  // 000000004FCC: BF8A0000
	s_setvskip s20, 0                                          // 000000004FD0: BF108014
	global_atomic_pk_add_bf16 v80, v64, s[8:9]                 // 000000004FD4: DD488000 00084050
	s_setvskip 0, 0                                            // 000000004FDC: BF108080
	s_setvskip s20, 0                                          // 000000004FE0: BF108014
	global_atomic_pk_add_bf16 v80, v65, s[8:9] offset:256      // 000000004FE4: DD488100 00084150
	s_setvskip 0, 0                                            // 000000004FEC: BF108080
	s_setvskip s20, 1                                          // 000000004FF0: BF108114
	global_atomic_pk_add_bf16 v82, v66, s[8:9]                 // 000000004FF4: DD488000 00084252
	s_setvskip 0, 0                                            // 000000004FFC: BF108080
	s_setvskip s20, 1                                          // 000000005000: BF108114
	global_atomic_pk_add_bf16 v82, v67, s[8:9] offset:256      // 000000005004: DD488100 00084352
	s_setvskip 0, 0                                            // 00000000500C: BF108080
	s_setvskip s20, 2                                          // 000000005010: BF108214
	global_atomic_pk_add_bf16 v84, v68, s[8:9]                 // 000000005014: DD488000 00084454
	s_setvskip 0, 0                                            // 00000000501C: BF108080
	s_setvskip s20, 2                                          // 000000005020: BF108214
	global_atomic_pk_add_bf16 v84, v69, s[8:9] offset:256      // 000000005024: DD488100 00084554
	s_setvskip 0, 0                                            // 00000000502C: BF108080
	s_setvskip s20, 3                                          // 000000005030: BF108314
	global_atomic_pk_add_bf16 v86, v70, s[8:9]                 // 000000005034: DD488000 00084656
	s_setvskip 0, 0                                            // 00000000503C: BF108080
	s_setvskip s20, 3                                          // 000000005040: BF108314
	global_atomic_pk_add_bf16 v86, v71, s[8:9] offset:256      // 000000005044: DD488100 00084756
	s_setvskip 0, 0                                            // 00000000504C: BF108080
	s_add_u32 s8, s59, s8                                      // 000000005050: 8008083B
	s_addc_u32 s9, 0, s9                                       // 000000005054: 82090980
	s_addk_i32 s80, 0x100                                      // 000000005058: B7500100
	s_cmp_lt_i32 s80, s81                                      // 00000000505C: BF045150
	s_cbranch_scc0 label_093C                                  // 000000005060: BF8400A3
	s_waitcnt vmcnt(13) lgkmcnt(0)                             // 000000005064: BF8C007D
	s_barrier                                                  // 000000005068: BF8A0000
	v_mfma_f32_16x16x128_f8f6f4 v[128:131], a[64:71], v[96:103], 0// 00000000506C: D3AD0080 0A02C140
	ds_read_b32 v64, v5 offset:34560                           // 000000005074: D86C8700 40000005
	ds_read_b32 v65, v5 offset:38912                           // 00000000507C: D86C9800 41000005
	ds_read_b32 v66, v5 offset:34568                           // 000000005084: D86C8708 42000005
	ds_read_b32 v67, v5 offset:38920                           // 00000000508C: D86C9808 43000005
	ds_read_b32 v68, v5 offset:34592                           // 000000005094: D86C8720 44000005
	ds_read_b32 v69, v5 offset:38944                           // 00000000509C: D86C9820 45000005
	ds_read_b32 v70, v5 offset:34600                           // 0000000050A4: D86C8728 46000005
	ds_read_b32 v71, v5 offset:38952                           // 0000000050AC: D86C9828 47000005
	v_mfma_f32_16x16x128_f8f6f4 v[132:135], a[72:79], v[96:103], 0// 0000000050B4: D3AD0084 0A02C148
	buffer_load_dword v22, v6, s[16:19], 0 offen               // 0000000050BC: E0501000 80041606
	buffer_load_dwordx4 a[32:35], v38, s[12:15], 0 offen       // 0000000050C4: E05C1000 80832026
	buffer_load_dwordx4 a[36:39], v38, s[12:15], 0 offen offset:1024// 0000000050CC: E05C1400 80832426
	buffer_load_dwordx4 a[40:43], v39, s[12:15], 0 offen       // 0000000050D4: E05C1000 80832827
	buffer_load_dwordx4 a[44:47], v39, s[12:15], 0 offen offset:1024// 0000000050DC: E05C1400 80832C27
	s_waitcnt vmcnt(13)                                        // 0000000050E4: BF8C0F7D
	v_mfma_f32_16x16x128_f8f6f4 v[136:139], a[80:87], v[96:103], 0// 0000000050E8: D3AD0088 0A02C150
	ds_write_b64 v4, v[112:113] offset:17152                   // 0000000050F0: D89A4300 00007004
	ds_write_b64 v4, v[114:115] offset:19328                   // 0000000050F8: D89A4B80 00007204
	ds_write_b64 v4, v[116:117] offset:21504                   // 000000005100: D89A5400 00007404
	ds_write_b64 v4, v[118:119] offset:23680                   // 000000005108: D89A5C80 00007604
	v_mfma_f32_16x16x128_f8f6f4 v[140:143], a[88:95], v[96:103], 0// 000000005110: D3AD008C 0A02C158
	buffer_load_dwordx4 a[48:51], v40, s[12:15], 0 offen       // 000000005118: E05C1000 80833028
	buffer_load_dwordx4 a[52:55], v40, s[12:15], 0 offen offset:1024// 000000005120: E05C1400 80833428
	buffer_load_dwordx4 a[56:59], v41, s[12:15], 0 offen       // 000000005128: E05C1000 80833829
	buffer_load_dwordx4 a[60:63], v41, s[12:15], 0 offen offset:1024// 000000005130: E05C1400 80833C29
	v_mul_f32_dpp v46, v23, v32 row_newbcast:0 row_mask:0xf bank_mask:0xf// 000000005138: 0A5C40FA FF015017
	v_mov_b32_e32 v47, v46                                     // 000000005140: 7E5E032E
	v_pk_mul_f32 v[128:129], v[46:47], v[128:129]              // 000000005144: D3B14080 1803012E
	v_pk_mul_f32 v[130:131], v[46:47], v[130:131]              // 00000000514C: D3B14082 1803052E
	v_pk_mul_f32 v[132:133], v[46:47], v[132:133]              // 000000005154: D3B14084 1803092E
	v_pk_mul_f32 v[134:135], v[46:47], v[134:135]              // 00000000515C: D3B14086 18030D2E
	v_mul_f32_dpp v46, v23, v32 row_newbcast:1 row_mask:0xf bank_mask:0xf// 000000005164: 0A5C40FA FF015117
	v_mov_b32_e32 v47, v46                                     // 00000000516C: 7E5E032E
	v_pk_mul_f32 v[136:137], v[46:47], v[136:137]              // 000000005170: D3B14088 1803112E
	v_pk_mul_f32 v[138:139], v[46:47], v[138:139]              // 000000005178: D3B1408A 1803152E
	v_pk_mul_f32 v[140:141], v[46:47], v[140:141]              // 000000005180: D3B1408C 1803192E
	v_pk_mul_f32 v[142:143], v[46:47], v[142:143]              // 000000005188: D3B1408E 18031D2E
	s_add_u32 s60, 0x300, s80                                  // 000000005190: 803C50FF 00000300
	s_cmp_lt_u32 s60, s81                                      // 000000005198: BF0A513C
	s_cselect_b32 s56, s56, 0                                  // 00000000519C: 85388038
	s_cselect_b32 s78, s78, 0                                  // 0000000051A0: 854E804E
	s_cselect_b32 s79, s79, 0                                  // 0000000051A4: 854F804F
	s_add_u32 s12, s56, s12                                    // 0000000051A8: 800C0C38
	s_addc_u32 s13, 0, s13                                     // 0000000051AC: 820D0D80
	s_add_u32 s16, s79, s16                                    // 0000000051B0: 8010104F
	s_addc_u32 s17, 0, s17                                     // 0000000051B4: 82111180
	v_mov_b32_e32 v46, v27                                     // 0000000051B8: 7E5C031B
	v_mov_b32_e32 v47, v27                                     // 0000000051BC: 7E5E031B
	v_pk_mul_f32 v[128:129], v[46:47], v[128:129]              // 0000000051C0: D3B14080 1803012E
	v_pk_mul_f32 v[130:131], v[46:47], v[130:131]              // 0000000051C8: D3B14082 1803052E
	v_pk_mul_f32 v[132:133], v[46:47], v[132:133]              // 0000000051D0: D3B14084 1803092E
	v_pk_mul_f32 v[134:135], v[46:47], v[134:135]              // 0000000051D8: D3B14086 18030D2E
	v_pk_mul_f32 v[136:137], v[46:47], v[136:137]              // 0000000051E0: D3B14088 1803112E
	v_pk_mul_f32 v[138:139], v[46:47], v[138:139]              // 0000000051E8: D3B1408A 1803152E
	v_pk_mul_f32 v[140:141], v[46:47], v[140:141]              // 0000000051F0: D3B1408C 1803192E
	v_pk_mul_f32 v[142:143], v[46:47], v[142:143]              // 0000000051F8: D3B1408E 18031D2E
	v_cvt_pk_bf16_f32 v128, v128, v129                         // 000000005200: D2680080 00030380
	v_cvt_pk_bf16_f32 v129, v130, v131                         // 000000005208: D2680081 00030782
	v_cvt_pk_bf16_f32 v130, v132, v133                         // 000000005210: D2680082 00030B84
	v_cvt_pk_bf16_f32 v131, v134, v135                         // 000000005218: D2680083 00030F86
	v_cvt_pk_bf16_f32 v132, v136, v137                         // 000000005220: D2680084 00031388
	v_cvt_pk_bf16_f32 v133, v138, v139                         // 000000005228: D2680085 0003178A
	v_cvt_pk_bf16_f32 v134, v140, v141                         // 000000005230: D2680086 00031B8C
	v_cvt_pk_bf16_f32 v135, v142, v143                         // 000000005238: D2680087 00031F8E
	s_cmp_ge_u32 s80, 0x200                                    // 000000005240: BF09FF50 00000200
	s_cselect_b32 s59, 0x200, s59                              // 000000005248: 853B3BFF 00000200
	s_waitcnt lgkmcnt(0)                                       // 000000005250: BF8CC07F
	s_barrier                                                  // 000000005254: BF8A0000
	s_setvskip s20, 0                                          // 000000005258: BF108014
	global_atomic_pk_add_bf16 v80, v64, s[8:9]                 // 00000000525C: DD488000 00084050
	s_setvskip 0, 0                                            // 000000005264: BF108080
	s_setvskip s20, 0                                          // 000000005268: BF108014
	global_atomic_pk_add_bf16 v80, v65, s[8:9] offset:256      // 00000000526C: DD488100 00084150
	s_setvskip 0, 0                                            // 000000005274: BF108080
	s_setvskip s20, 1                                          // 000000005278: BF108114
	global_atomic_pk_add_bf16 v82, v66, s[8:9]                 // 00000000527C: DD488000 00084252
	s_setvskip 0, 0                                            // 000000005284: BF108080
	s_setvskip s20, 1                                          // 000000005288: BF108114
	global_atomic_pk_add_bf16 v82, v67, s[8:9] offset:256      // 00000000528C: DD488100 00084352
	s_setvskip 0, 0                                            // 000000005294: BF108080
	s_setvskip s20, 2                                          // 000000005298: BF108214
	global_atomic_pk_add_bf16 v84, v68, s[8:9]                 // 00000000529C: DD488000 00084454
	s_setvskip 0, 0                                            // 0000000052A4: BF108080
	s_setvskip s20, 2                                          // 0000000052A8: BF108214
	global_atomic_pk_add_bf16 v84, v69, s[8:9] offset:256      // 0000000052AC: DD488100 00084554
	s_setvskip 0, 0                                            // 0000000052B4: BF108080
	s_setvskip s20, 3                                          // 0000000052B8: BF108314
	global_atomic_pk_add_bf16 v86, v70, s[8:9]                 // 0000000052BC: DD488000 00084656
	s_setvskip 0, 0                                            // 0000000052C4: BF108080
	s_setvskip s20, 3                                          // 0000000052C8: BF108314
	global_atomic_pk_add_bf16 v86, v71, s[8:9] offset:256      // 0000000052CC: DD488100 00084756
	s_setvskip 0, 0                                            // 0000000052D4: BF108080
	s_add_u32 s8, s59, s8                                      // 0000000052D8: 8008083B
	s_addc_u32 s9, 0, s9                                       // 0000000052DC: 82090980
	s_addk_i32 s80, 0x100                                      // 0000000052E0: B7500100
	s_cmp_lt_i32 s80, s81                                      // 0000000052E4: BF045150
	s_cbranch_scc0 label_093C                                  // 0000000052E8: BF840001
	s_branch label_056F                                        // 0000000052EC: BF82FC33

00000000000052f0 <label_093C>:
	s_nop 0                                                    // 0000000052F0: BF800000
	s_nop 0                                                    // 0000000052F4: BF800000
	s_branch label_1003                                        // 0000000052F8: BF8206C4

00000000000052fc <label_093F>:
	s_waitcnt vmcnt(34) lgkmcnt(0)                             // 0000000052FC: BF8C8072
	s_barrier                                                  // 000000005300: BF8A0000
	v_mfma_f32_16x16x128_f8f6f4 v[104:107], a[0:7], v[112:119], 0// 000000005304: D3AD0068 0A02E100
	buffer_load_dwordx4 v34, s[20:23], 0 offen lds             // 00000000530C: E05D1000 80050022
	s_add_u32 m0, m0, s76                                      // 000000005314: 807C4C7C
	buffer_load_dword v7, s[28:31], 0 offen lds                // 000000005318: E0511000 80070007
	s_add_u32 m0, 0, s50                                       // 000000005320: 807C3280
	buffer_load_dword v23, v11, s[32:35], 0 offen              // 000000005324: E0501000 8008170B
	buffer_load_dword v26, v13, s[32:35], 0 offen              // 00000000532C: E0501000 80081A0D
	buffer_load_dwordx4 a[128:131], v36, s[24:27], 0 offen     // 000000005334: E05C1000 80868024
	buffer_load_dwordx4 a[132:135], v36, s[24:27], 0 offen offset:1024// 00000000533C: E05C1400 80868424
	buffer_load_dwordx4 a[136:139], v37, s[24:27], 0 offen     // 000000005344: E05C1000 80868825
	buffer_load_dwordx4 a[140:143], v37, s[24:27], 0 offen offset:1024// 00000000534C: E05C1400 80868C25
	s_waitcnt vmcnt(34)                                        // 000000005354: BF8C8F72
	v_mfma_f32_16x16x128_f8f6f4 v[108:111], a[8:15], v[112:119], 0// 000000005358: D3AD006C 0A02E108
	v_mul_f32_dpp v46, v21, v15 row_newbcast:0 row_mask:0xf bank_mask:0xf// 000000005360: 0A5C1EFA FF015015
	v_mov_b32_e32 v47, v46                                     // 000000005368: 7E5E032E
	v_pk_fma_f32 v[96:97], v[104:105], v[46:47], v[96:97]      // 00000000536C: D3B04060 1D825D68
	v_pk_fma_f32 v[98:99], v[106:107], v[46:47], v[98:99]      // 000000005374: D3B04062 1D8A5D6A
	v_pk_fma_f32 v[100:101], v[108:109], v[46:47], v[100:101]  // 00000000537C: D3B04064 1D925D6C
	v_pk_fma_f32 v[102:103], v[110:111], v[46:47], v[102:103]  // 000000005384: D3B04066 1D9A5D6E
	s_waitcnt vmcnt(32)                                        // 00000000538C: BF8C8F70
	v_mfma_f32_16x16x128_f8f6f4 v[104:107], a[16:23], v[120:127], 0// 000000005390: D3AD0068 0A02F110
	buffer_load_dwordx4 a[144:147], v36, s[24:27], 0 offen offset:2048// 000000005398: E05C1800 80869024
	buffer_load_dwordx4 a[148:151], v36, s[24:27], 0 offen offset:3072// 0000000053A0: E05C1C00 80869424
	buffer_load_dwordx4 a[152:155], v37, s[24:27], 0 offen offset:2048// 0000000053A8: E05C1800 80869825
	buffer_load_dwordx4 a[156:159], v37, s[24:27], 0 offen offset:3072// 0000000053B0: E05C1C00 80869C25
	s_waitcnt vmcnt(34)                                        // 0000000053B8: BF8C8F72
	v_mfma_f32_16x16x128_f8f6f4 v[108:111], a[24:31], v[120:127], 0// 0000000053BC: D3AD006C 0A02F118
	v_mul_f32_dpp v46, v21, v16 row_newbcast:2 row_mask:0xf bank_mask:0xf// 0000000053C4: 0A5C20FA FF015215
	v_mov_b32_e32 v47, v46                                     // 0000000053CC: 7E5E032E
	v_pk_fma_f32 v[96:97], v[104:105], v[46:47], v[96:97]      // 0000000053D0: D3B04060 1D825D68
	v_pk_fma_f32 v[98:99], v[106:107], v[46:47], v[98:99]      // 0000000053D8: D3B04062 1D8A5D6A
	v_pk_fma_f32 v[100:101], v[108:109], v[46:47], v[100:101]  // 0000000053E0: D3B04064 1D925D6C
	v_pk_fma_f32 v[102:103], v[110:111], v[46:47], v[102:103]  // 0000000053E8: D3B04066 1D9A5D6E
	s_add_u32 s60, 0x300, s80                                  // 0000000053F0: 803C50FF 00000300
	s_cmp_lt_u32 s60, s81                                      // 0000000053F8: BF0A513C
	s_cselect_b32 s4, s4, 0                                    // 0000000053FC: 85048004
	s_add_u32 s32, s4, s32                                     // 000000005400: 80202004
	s_addc_u32 s33, 0, s33                                     // 000000005404: 82212180
	s_waitcnt vmcnt(20)                                        // 000000005408: BF8C4F74
	s_barrier                                                  // 00000000540C: BF8A0000
	v_mfma_f32_16x16x128_f8f6f4 v[104:107], a[32:39], v[112:119], 0// 000000005410: D3AD0068 0A02E120
	buffer_load_dwordx4 a[160:163], v36, s[92:95], 0 offen     // 000000005418: E05C1000 8097A024
	buffer_load_dwordx4 a[164:167], v36, s[92:95], 0 offen offset:1024// 000000005420: E05C1400 8097A424
	buffer_load_dwordx4 a[168:171], v37, s[92:95], 0 offen     // 000000005428: E05C1000 8097A825
	buffer_load_dwordx4 a[172:175], v37, s[92:95], 0 offen offset:1024// 000000005430: E05C1400 8097AC25
	s_waitcnt vmcnt(24)                                        // 000000005438: BF8C4F78
	v_mfma_f32_16x16x128_f8f6f4 v[108:111], a[40:47], v[112:119], 0// 00000000543C: D3AD006C 0A02E128
	v_mul_f32_dpp v46, v24, v15 row_newbcast:0 row_mask:0xf bank_mask:0xf// 000000005444: 0A5C1EFA FF015018
	v_mov_b32_e32 v47, v46                                     // 00000000544C: 7E5E032E
	v_pk_fma_f32 v[64:65], v[104:105], v[46:47], v[64:65]      // 000000005450: D3B04040 1D025D68
	v_pk_fma_f32 v[66:67], v[106:107], v[46:47], v[66:67]      // 000000005458: D3B04042 1D0A5D6A
	v_pk_fma_f32 v[68:69], v[108:109], v[46:47], v[68:69]      // 000000005460: D3B04044 1D125D6C
	v_pk_fma_f32 v[70:71], v[110:111], v[46:47], v[70:71]      // 000000005468: D3B04046 1D1A5D6E
	s_waitcnt vmcnt(22)                                        // 000000005470: BF8C4F76
	v_mfma_f32_16x16x128_f8f6f4 v[104:107], a[48:55], v[120:127], 0// 000000005474: D3AD0068 0A02F130
	buffer_load_dwordx4 a[176:179], v36, s[92:95], 0 offen offset:2048// 00000000547C: E05C1800 8097B024
	buffer_load_dwordx4 a[180:183], v36, s[92:95], 0 offen offset:3072// 000000005484: E05C1C00 8097B424
	buffer_load_dwordx4 a[184:187], v37, s[92:95], 0 offen offset:2048// 00000000548C: E05C1800 8097B825
	buffer_load_dwordx4 a[188:191], v37, s[92:95], 0 offen offset:3072// 000000005494: E05C1C00 8097BC25
	s_waitcnt vmcnt(24)                                        // 00000000549C: BF8C4F78
	v_mfma_f32_16x16x128_f8f6f4 v[108:111], a[56:63], v[120:127], 0// 0000000054A0: D3AD006C 0A02F138
	ds_read_b128 v[128:131], v2 offset:5376                    // 0000000054A8: D9FE1500 80000002
	ds_read_b128 v[132:135], v2 offset:5440                    // 0000000054B0: D9FE1540 84000002
	ds_read_b128 v[136:139], v2 offset:5888                    // 0000000054B8: D9FE1700 88000002
	ds_read_b128 v[140:143], v2 offset:5952                    // 0000000054C0: D9FE1740 8C000002
	ds_read_b32 v17, v3 offset:9728                            // 0000000054C8: D86C2600 11000003
	ds_read_b32 v18, v3 offset:9984                            // 0000000054D0: D86C2700 12000003
	v_mul_f32_dpp v46, v24, v16 row_newbcast:2 row_mask:0xf bank_mask:0xf// 0000000054D8: 0A5C20FA FF015218
	v_mov_b32_e32 v47, v46                                     // 0000000054E0: 7E5E032E
	v_pk_fma_f32 v[64:65], v[104:105], v[46:47], v[64:65]      // 0000000054E4: D3B04040 1D025D68
	v_pk_fma_f32 v[66:67], v[106:107], v[46:47], v[66:67]      // 0000000054EC: D3B04042 1D0A5D6A
	v_pk_fma_f32 v[68:69], v[108:109], v[46:47], v[68:69]      // 0000000054F4: D3B04044 1D125D6C
	v_pk_fma_f32 v[70:71], v[110:111], v[46:47], v[70:71]      // 0000000054FC: D3B04046 1D1A5D6E
	s_add_u32 s60, 0x300, s80                                  // 000000005504: 803C50FF 00000300
	s_cmp_lt_u32 s60, s81                                      // 00000000550C: BF0A513C
	s_cselect_b32 s57, s57, 0                                  // 000000005510: 85398039
	s_cselect_b32 s3, s3, 0                                    // 000000005514: 85038003
	s_add_u32 s60, 0x300, s80                                  // 000000005518: 803C50FF 00000300
	s_cmp_lt_u32 s60, s81                                      // 000000005520: BF0A513C
	s_cselect_b32 s58, s58, 0                                  // 000000005524: 853A803A
	s_cselect_b32 s90, s90, 0                                  // 000000005528: 855A805A
	s_add_u32 s20, s57, s20                                    // 00000000552C: 80141439
	s_addc_u32 s21, 0, s21                                     // 000000005530: 82151580
	s_add_u32 s28, s3, s28                                     // 000000005534: 801C1C03
	s_addc_u32 s29, 0, s29                                     // 000000005538: 821D1D80
	s_add_u32 s24, s58, s24                                    // 00000000553C: 8018183A
	s_addc_u32 s25, 0, s25                                     // 000000005540: 82191980
	s_add_u32 s92, s90, s92                                    // 000000005544: 805C5C5A
	s_addc_u32 s93, 0, s93                                     // 000000005548: 825D5D80
	s_addk_i32 s80, 0x100                                      // 00000000554C: B7500100
	s_cmp_lt_i32 s80, s81                                      // 000000005550: BF045150
	s_cbranch_scc0 label_0B05                                  // 000000005554: BF84012F
	s_waitcnt vmcnt(34) lgkmcnt(0)                             // 000000005558: BF8C8072
	s_barrier                                                  // 00000000555C: BF8A0000
	v_mfma_f32_16x16x128_f8f6f4 v[104:107], a[64:71], v[128:135], 0// 000000005560: D3AD0068 0A030140
	buffer_load_dwordx4 v34, s[20:23], 0 offen lds             // 000000005568: E05D1000 80050022
	s_add_u32 m0, m0, s76                                      // 000000005570: 807C4C7C
	buffer_load_dword v7, s[28:31], 0 offen lds                // 000000005574: E0511000 80070007
	s_add_u32 m0, 0, s51                                       // 00000000557C: 807C3380
	buffer_load_dword v21, v11, s[32:35], 0 offen              // 000000005580: E0501000 8008150B
	buffer_load_dword v24, v13, s[32:35], 0 offen              // 000000005588: E0501000 8008180D
	buffer_load_dwordx4 a[0:3], v36, s[24:27], 0 offen         // 000000005590: E05C1000 80860024
	buffer_load_dwordx4 a[4:7], v36, s[24:27], 0 offen offset:1024// 000000005598: E05C1400 80860424
	buffer_load_dwordx4 a[8:11], v37, s[24:27], 0 offen        // 0000000055A0: E05C1000 80860825
	buffer_load_dwordx4 a[12:15], v37, s[24:27], 0 offen offset:1024// 0000000055A8: E05C1400 80860C25
	s_waitcnt vmcnt(34)                                        // 0000000055B0: BF8C8F72
	v_mfma_f32_16x16x128_f8f6f4 v[108:111], a[72:79], v[128:135], 0// 0000000055B4: D3AD006C 0A030148
	v_mul_f32_dpp v46, v22, v17 row_newbcast:0 row_mask:0xf bank_mask:0xf// 0000000055BC: 0A5C22FA FF015016
	v_mov_b32_e32 v47, v46                                     // 0000000055C4: 7E5E032E
	v_pk_fma_f32 v[96:97], v[104:105], v[46:47], v[96:97]      // 0000000055C8: D3B04060 1D825D68
	v_pk_fma_f32 v[98:99], v[106:107], v[46:47], v[98:99]      // 0000000055D0: D3B04062 1D8A5D6A
	v_pk_fma_f32 v[100:101], v[108:109], v[46:47], v[100:101]  // 0000000055D8: D3B04064 1D925D6C
	v_pk_fma_f32 v[102:103], v[110:111], v[46:47], v[102:103]  // 0000000055E0: D3B04066 1D9A5D6E
	s_waitcnt vmcnt(32)                                        // 0000000055E8: BF8C8F70
	v_mfma_f32_16x16x128_f8f6f4 v[104:107], a[80:87], v[136:143], 0// 0000000055EC: D3AD0068 0A031150
	buffer_load_dwordx4 a[16:19], v36, s[24:27], 0 offen offset:2048// 0000000055F4: E05C1800 80861024
	buffer_load_dwordx4 a[20:23], v36, s[24:27], 0 offen offset:3072// 0000000055FC: E05C1C00 80861424
	buffer_load_dwordx4 a[24:27], v37, s[24:27], 0 offen offset:2048// 000000005604: E05C1800 80861825
	buffer_load_dwordx4 a[28:31], v37, s[24:27], 0 offen offset:3072// 00000000560C: E05C1C00 80861C25
	s_waitcnt vmcnt(34)                                        // 000000005614: BF8C8F72
	v_mfma_f32_16x16x128_f8f6f4 v[108:111], a[88:95], v[136:143], 0// 000000005618: D3AD006C 0A031158
	v_mul_f32_dpp v46, v22, v18 row_newbcast:2 row_mask:0xf bank_mask:0xf// 000000005620: 0A5C24FA FF015216
	v_mov_b32_e32 v47, v46                                     // 000000005628: 7E5E032E
	v_pk_fma_f32 v[96:97], v[104:105], v[46:47], v[96:97]      // 00000000562C: D3B04060 1D825D68
	v_pk_fma_f32 v[98:99], v[106:107], v[46:47], v[98:99]      // 000000005634: D3B04062 1D8A5D6A
	v_pk_fma_f32 v[100:101], v[108:109], v[46:47], v[100:101]  // 00000000563C: D3B04064 1D925D6C
	v_pk_fma_f32 v[102:103], v[110:111], v[46:47], v[102:103]  // 000000005644: D3B04066 1D9A5D6E
	s_add_u32 s60, 0x300, s80                                  // 00000000564C: 803C50FF 00000300
	s_cmp_lt_u32 s60, s81                                      // 000000005654: BF0A513C
	s_cselect_b32 s4, s4, 0                                    // 000000005658: 85048004
	s_add_u32 s32, s4, s32                                     // 00000000565C: 80202004
	s_addc_u32 s33, 0, s33                                     // 000000005660: 82212180
	s_waitcnt vmcnt(20)                                        // 000000005664: BF8C4F74
	s_barrier                                                  // 000000005668: BF8A0000
	v_mfma_f32_16x16x128_f8f6f4 v[104:107], a[96:103], v[128:135], 0// 00000000566C: D3AD0068 0A030160
	buffer_load_dwordx4 a[32:35], v36, s[92:95], 0 offen       // 000000005674: E05C1000 80972024
	buffer_load_dwordx4 a[36:39], v36, s[92:95], 0 offen offset:1024// 00000000567C: E05C1400 80972424
	buffer_load_dwordx4 a[40:43], v37, s[92:95], 0 offen       // 000000005684: E05C1000 80972825
	buffer_load_dwordx4 a[44:47], v37, s[92:95], 0 offen offset:1024// 00000000568C: E05C1400 80972C25
	s_waitcnt vmcnt(24)                                        // 000000005694: BF8C4F78
	v_mfma_f32_16x16x128_f8f6f4 v[108:111], a[104:111], v[128:135], 0// 000000005698: D3AD006C 0A030168
	v_mul_f32_dpp v46, v25, v17 row_newbcast:0 row_mask:0xf bank_mask:0xf// 0000000056A0: 0A5C22FA FF015019
	v_mov_b32_e32 v47, v46                                     // 0000000056A8: 7E5E032E
	v_pk_fma_f32 v[64:65], v[104:105], v[46:47], v[64:65]      // 0000000056AC: D3B04040 1D025D68
	v_pk_fma_f32 v[66:67], v[106:107], v[46:47], v[66:67]      // 0000000056B4: D3B04042 1D0A5D6A
	v_pk_fma_f32 v[68:69], v[108:109], v[46:47], v[68:69]      // 0000000056BC: D3B04044 1D125D6C
	v_pk_fma_f32 v[70:71], v[110:111], v[46:47], v[70:71]      // 0000000056C4: D3B04046 1D1A5D6E
	s_waitcnt vmcnt(22)                                        // 0000000056CC: BF8C4F76
	v_mfma_f32_16x16x128_f8f6f4 v[104:107], a[112:119], v[136:143], 0// 0000000056D0: D3AD0068 0A031170
	buffer_load_dwordx4 a[48:51], v36, s[92:95], 0 offen offset:2048// 0000000056D8: E05C1800 80973024
	buffer_load_dwordx4 a[52:55], v36, s[92:95], 0 offen offset:3072// 0000000056E0: E05C1C00 80973424
	buffer_load_dwordx4 a[56:59], v37, s[92:95], 0 offen offset:2048// 0000000056E8: E05C1800 80973825
	buffer_load_dwordx4 a[60:63], v37, s[92:95], 0 offen offset:3072// 0000000056F0: E05C1C00 80973C25
	s_waitcnt vmcnt(24)                                        // 0000000056F8: BF8C4F78
	v_mfma_f32_16x16x128_f8f6f4 v[108:111], a[120:127], v[136:143], 0// 0000000056FC: D3AD006C 0A031178
	ds_read_b128 v[144:147], v2 offset:10752                   // 000000005704: D9FE2A00 90000002
	ds_read_b128 v[148:151], v2 offset:10816                   // 00000000570C: D9FE2A40 94000002
	ds_read_b128 v[152:155], v2 offset:11264                   // 000000005714: D9FE2C00 98000002
	ds_read_b128 v[156:159], v2 offset:11328                   // 00000000571C: D9FE2C40 9C000002
	ds_read_b32 v19, v3 offset:15104                           // 000000005724: D86C3B00 13000003
	ds_read_b32 v20, v3 offset:15360                           // 00000000572C: D86C3C00 14000003
	v_mul_f32_dpp v46, v25, v18 row_newbcast:2 row_mask:0xf bank_mask:0xf// 000000005734: 0A5C24FA FF015219
	v_mov_b32_e32 v47, v46                                     // 00000000573C: 7E5E032E
	v_pk_fma_f32 v[64:65], v[104:105], v[46:47], v[64:65]      // 000000005740: D3B04040 1D025D68
	v_pk_fma_f32 v[66:67], v[106:107], v[46:47], v[66:67]      // 000000005748: D3B04042 1D0A5D6A
	v_pk_fma_f32 v[68:69], v[108:109], v[46:47], v[68:69]      // 000000005750: D3B04044 1D125D6C
	v_pk_fma_f32 v[70:71], v[110:111], v[46:47], v[70:71]      // 000000005758: D3B04046 1D1A5D6E
	s_add_u32 s60, 0x300, s80                                  // 000000005760: 803C50FF 00000300
	s_cmp_lt_u32 s60, s81                                      // 000000005768: BF0A513C
	s_cselect_b32 s57, s57, 0                                  // 00000000576C: 85398039
	s_cselect_b32 s3, s3, 0                                    // 000000005770: 85038003
	s_add_u32 s60, 0x300, s80                                  // 000000005774: 803C50FF 00000300
	s_cmp_lt_u32 s60, s81                                      // 00000000577C: BF0A513C
	s_cselect_b32 s58, s58, 0                                  // 000000005780: 853A803A
	s_cselect_b32 s90, s90, 0                                  // 000000005784: 855A805A
	s_add_u32 s20, s57, s20                                    // 000000005788: 80141439
	s_addc_u32 s21, 0, s21                                     // 00000000578C: 82151580
	s_add_u32 s28, s3, s28                                     // 000000005790: 801C1C03
	s_addc_u32 s29, 0, s29                                     // 000000005794: 821D1D80
	s_add_u32 s24, s58, s24                                    // 000000005798: 8018183A
	s_addc_u32 s25, 0, s25                                     // 00000000579C: 82191980
	s_add_u32 s92, s90, s92                                    // 0000000057A0: 805C5C5A
	s_addc_u32 s93, 0, s93                                     // 0000000057A4: 825D5D80
	s_addk_i32 s80, 0x100                                      // 0000000057A8: B7500100
	s_cmp_lt_i32 s80, s81                                      // 0000000057AC: BF045150
	s_cbranch_scc0 label_0B05                                  // 0000000057B0: BF840098
	s_waitcnt vmcnt(34) lgkmcnt(0)                             // 0000000057B4: BF8C8072
	s_barrier                                                  // 0000000057B8: BF8A0000
	v_mfma_f32_16x16x128_f8f6f4 v[104:107], a[128:135], v[144:151], 0// 0000000057BC: D3AD0068 0A032180
	buffer_load_dwordx4 v34, s[20:23], 0 offen lds             // 0000000057C4: E05D1000 80050022
	s_add_u32 m0, m0, s76                                      // 0000000057CC: 807C4C7C
	buffer_load_dword v7, s[28:31], 0 offen lds                // 0000000057D0: E0511000 80070007
	s_add_u32 m0, 0, s52                                       // 0000000057D8: 807C3480
	buffer_load_dword v22, v11, s[32:35], 0 offen              // 0000000057DC: E0501000 8008160B
	buffer_load_dword v25, v13, s[32:35], 0 offen              // 0000000057E4: E0501000 8008190D
	buffer_load_dwordx4 a[64:67], v36, s[24:27], 0 offen       // 0000000057EC: E05C1000 80864024
	buffer_load_dwordx4 a[68:71], v36, s[24:27], 0 offen offset:1024// 0000000057F4: E05C1400 80864424
	buffer_load_dwordx4 a[72:75], v37, s[24:27], 0 offen       // 0000000057FC: E05C1000 80864825
	buffer_load_dwordx4 a[76:79], v37, s[24:27], 0 offen offset:1024// 000000005804: E05C1400 80864C25
	s_waitcnt vmcnt(34)                                        // 00000000580C: BF8C8F72
	v_mfma_f32_16x16x128_f8f6f4 v[108:111], a[136:143], v[144:151], 0// 000000005810: D3AD006C 0A032188
	v_mul_f32_dpp v46, v23, v19 row_newbcast:0 row_mask:0xf bank_mask:0xf// 000000005818: 0A5C26FA FF015017
	v_mov_b32_e32 v47, v46                                     // 000000005820: 7E5E032E
	v_pk_fma_f32 v[96:97], v[104:105], v[46:47], v[96:97]      // 000000005824: D3B04060 1D825D68
	v_pk_fma_f32 v[98:99], v[106:107], v[46:47], v[98:99]      // 00000000582C: D3B04062 1D8A5D6A
	v_pk_fma_f32 v[100:101], v[108:109], v[46:47], v[100:101]  // 000000005834: D3B04064 1D925D6C
	v_pk_fma_f32 v[102:103], v[110:111], v[46:47], v[102:103]  // 00000000583C: D3B04066 1D9A5D6E
	s_waitcnt vmcnt(32)                                        // 000000005844: BF8C8F70
	v_mfma_f32_16x16x128_f8f6f4 v[104:107], a[144:151], v[152:159], 0// 000000005848: D3AD0068 0A033190
	buffer_load_dwordx4 a[80:83], v36, s[24:27], 0 offen offset:2048// 000000005850: E05C1800 80865024
	buffer_load_dwordx4 a[84:87], v36, s[24:27], 0 offen offset:3072// 000000005858: E05C1C00 80865424
	buffer_load_dwordx4 a[88:91], v37, s[24:27], 0 offen offset:2048// 000000005860: E05C1800 80865825
	buffer_load_dwordx4 a[92:95], v37, s[24:27], 0 offen offset:3072// 000000005868: E05C1C00 80865C25
	s_waitcnt vmcnt(34)                                        // 000000005870: BF8C8F72
	v_mfma_f32_16x16x128_f8f6f4 v[108:111], a[152:159], v[152:159], 0// 000000005874: D3AD006C 0A033198
	v_mul_f32_dpp v46, v23, v20 row_newbcast:2 row_mask:0xf bank_mask:0xf// 00000000587C: 0A5C28FA FF015217
	v_mov_b32_e32 v47, v46                                     // 000000005884: 7E5E032E
	v_pk_fma_f32 v[96:97], v[104:105], v[46:47], v[96:97]      // 000000005888: D3B04060 1D825D68
	v_pk_fma_f32 v[98:99], v[106:107], v[46:47], v[98:99]      // 000000005890: D3B04062 1D8A5D6A
	v_pk_fma_f32 v[100:101], v[108:109], v[46:47], v[100:101]  // 000000005898: D3B04064 1D925D6C
	v_pk_fma_f32 v[102:103], v[110:111], v[46:47], v[102:103]  // 0000000058A0: D3B04066 1D9A5D6E
	s_add_u32 s60, 0x300, s80                                  // 0000000058A8: 803C50FF 00000300
	s_cmp_lt_u32 s60, s81                                      // 0000000058B0: BF0A513C
	s_cselect_b32 s4, s4, 0                                    // 0000000058B4: 85048004
	s_add_u32 s32, s4, s32                                     // 0000000058B8: 80202004
	s_addc_u32 s33, 0, s33                                     // 0000000058BC: 82212180
	s_waitcnt vmcnt(20)                                        // 0000000058C0: BF8C4F74
	s_barrier                                                  // 0000000058C4: BF8A0000
	v_mfma_f32_16x16x128_f8f6f4 v[104:107], a[160:167], v[144:151], 0// 0000000058C8: D3AD0068 0A0321A0
	buffer_load_dwordx4 a[96:99], v36, s[92:95], 0 offen       // 0000000058D0: E05C1000 80976024
	buffer_load_dwordx4 a[100:103], v36, s[92:95], 0 offen offset:1024// 0000000058D8: E05C1400 80976424
	buffer_load_dwordx4 a[104:107], v37, s[92:95], 0 offen     // 0000000058E0: E05C1000 80976825
	buffer_load_dwordx4 a[108:111], v37, s[92:95], 0 offen offset:1024// 0000000058E8: E05C1400 80976C25
	s_waitcnt vmcnt(24)                                        // 0000000058F0: BF8C4F78
	v_mfma_f32_16x16x128_f8f6f4 v[108:111], a[168:175], v[144:151], 0// 0000000058F4: D3AD006C 0A0321A8
	v_mul_f32_dpp v46, v26, v19 row_newbcast:0 row_mask:0xf bank_mask:0xf// 0000000058FC: 0A5C26FA FF01501A
	v_mov_b32_e32 v47, v46                                     // 000000005904: 7E5E032E
	v_pk_fma_f32 v[64:65], v[104:105], v[46:47], v[64:65]      // 000000005908: D3B04040 1D025D68
	v_pk_fma_f32 v[66:67], v[106:107], v[46:47], v[66:67]      // 000000005910: D3B04042 1D0A5D6A
	v_pk_fma_f32 v[68:69], v[108:109], v[46:47], v[68:69]      // 000000005918: D3B04044 1D125D6C
	v_pk_fma_f32 v[70:71], v[110:111], v[46:47], v[70:71]      // 000000005920: D3B04046 1D1A5D6E
	s_waitcnt vmcnt(22)                                        // 000000005928: BF8C4F76
	v_mfma_f32_16x16x128_f8f6f4 v[104:107], a[176:183], v[152:159], 0// 00000000592C: D3AD0068 0A0331B0
	buffer_load_dwordx4 a[112:115], v36, s[92:95], 0 offen offset:2048// 000000005934: E05C1800 80977024
	buffer_load_dwordx4 a[116:119], v36, s[92:95], 0 offen offset:3072// 00000000593C: E05C1C00 80977424
	buffer_load_dwordx4 a[120:123], v37, s[92:95], 0 offen offset:2048// 000000005944: E05C1800 80977825
	buffer_load_dwordx4 a[124:127], v37, s[92:95], 0 offen offset:3072// 00000000594C: E05C1C00 80977C25
	s_waitcnt vmcnt(24)                                        // 000000005954: BF8C4F78
	v_mfma_f32_16x16x128_f8f6f4 v[108:111], a[184:191], v[152:159], 0// 000000005958: D3AD006C 0A0331B8
	ds_read_b128 v[112:115], v2                                // 000000005960: D9FE0000 70000002
	ds_read_b128 v[116:119], v2 offset:64                      // 000000005968: D9FE0040 74000002
	ds_read_b128 v[120:123], v2 offset:512                     // 000000005970: D9FE0200 78000002
	ds_read_b128 v[124:127], v2 offset:576                     // 000000005978: D9FE0240 7C000002
	ds_read_b32 v15, v3 offset:4352                            // 000000005980: D86C1100 0F000003
	ds_read_b32 v16, v3 offset:4608                            // 000000005988: D86C1200 10000003
	v_mul_f32_dpp v46, v26, v20 row_newbcast:2 row_mask:0xf bank_mask:0xf// 000000005990: 0A5C28FA FF01521A
	v_mov_b32_e32 v47, v46                                     // 000000005998: 7E5E032E
	v_pk_fma_f32 v[64:65], v[104:105], v[46:47], v[64:65]      // 00000000599C: D3B04040 1D025D68
	v_pk_fma_f32 v[66:67], v[106:107], v[46:47], v[66:67]      // 0000000059A4: D3B04042 1D0A5D6A
	v_pk_fma_f32 v[68:69], v[108:109], v[46:47], v[68:69]      // 0000000059AC: D3B04044 1D125D6C
	v_pk_fma_f32 v[70:71], v[110:111], v[46:47], v[70:71]      // 0000000059B4: D3B04046 1D1A5D6E
	s_add_u32 s60, 0x300, s80                                  // 0000000059BC: 803C50FF 00000300
	s_cmp_lt_u32 s60, s81                                      // 0000000059C4: BF0A513C
	s_cselect_b32 s57, s57, 0                                  // 0000000059C8: 85398039
	s_cselect_b32 s3, s3, 0                                    // 0000000059CC: 85038003
	s_add_u32 s60, 0x300, s80                                  // 0000000059D0: 803C50FF 00000300
	s_cmp_lt_u32 s60, s81                                      // 0000000059D8: BF0A513C
	s_cselect_b32 s58, s58, 0                                  // 0000000059DC: 853A803A
	s_cselect_b32 s90, s90, 0                                  // 0000000059E0: 855A805A
	s_add_u32 s20, s57, s20                                    // 0000000059E4: 80141439
	s_addc_u32 s21, 0, s21                                     // 0000000059E8: 82151580
	s_add_u32 s28, s3, s28                                     // 0000000059EC: 801C1C03
	s_addc_u32 s29, 0, s29                                     // 0000000059F0: 821D1D80
	s_add_u32 s24, s58, s24                                    // 0000000059F4: 8018183A
	s_addc_u32 s25, 0, s25                                     // 0000000059F8: 82191980
	s_add_u32 s92, s90, s92                                    // 0000000059FC: 805C5C5A
	s_addc_u32 s93, 0, s93                                     // 000000005A00: 825D5D80
	s_addk_i32 s80, 0x100                                      // 000000005A04: B7500100
	s_cmp_lt_i32 s80, s81                                      // 000000005A08: BF045150
	s_cbranch_scc0 label_0B05                                  // 000000005A0C: BF840001
	s_branch label_093F                                        // 000000005A10: BF82FE3A

0000000000005a14 <label_0B05>:
	s_mov_b32 s20, 0                                           // 000000005A14: BE940080
	s_cmp_lt_u32 s89, s66                                      // 000000005A18: BF0A4259
	s_cselect_b32 s60, 0, 1                                    // 000000005A1C: 853C8180
	s_lshl1_add_u32 s20, s20, s60                              // 000000005A20: 97143C14
	s_cmp_lt_u32 s88, s66                                      // 000000005A24: BF0A4258
	s_cselect_b32 s60, 0, 1                                    // 000000005A28: 853C8180
	s_lshl1_add_u32 s20, s20, s60                              // 000000005A2C: 97143C14
	s_cmp_lt_u32 s87, s66                                      // 000000005A30: BF0A4257
	s_cselect_b32 s60, 0, 1                                    // 000000005A34: 853C8180
	s_lshl1_add_u32 s20, s20, s60                              // 000000005A38: 97143C14
	s_cmp_lt_u32 s86, s66                                      // 000000005A3C: BF0A4256
	s_cselect_b32 s60, 0, 1                                    // 000000005A40: 853C8180
	s_lshl1_add_u32 s20, s20, s60                              // 000000005A44: 97143C14
	s_cmp_lt_u32 s85, s66                                      // 000000005A48: BF0A4255
	s_cselect_b32 s60, 0, 1                                    // 000000005A4C: 853C8180
	s_lshl1_add_u32 s20, s20, s60                              // 000000005A50: 97143C14
	s_cmp_lt_u32 s84, s66                                      // 000000005A54: BF0A4254
	s_cselect_b32 s60, 0, 1                                    // 000000005A58: 853C8180
	s_lshl1_add_u32 s20, s20, s60                              // 000000005A5C: 97143C14
	s_cmp_lt_u32 s83, s66                                      // 000000005A60: BF0A4253
	s_cselect_b32 s60, 0, 1                                    // 000000005A64: 853C8180
	s_lshl1_add_u32 s20, s20, s60                              // 000000005A68: 97143C14
	s_cmp_lt_u32 s82, s66                                      // 000000005A6C: BF0A4252
	s_cselect_b32 s60, 0, 1                                    // 000000005A70: 853C8180
	s_lshl1_add_u32 s20, s20, s60                              // 000000005A74: 97143C14
	s_waitcnt vmcnt(4)                                         // 000000005A78: BF8C0F74
	buffer_load_dword v21, v6, s[16:19], 0 offen               // 000000005A7C: E0501000 80041506
	s_add_u32 s16, s79, s16                                    // 000000005A84: 8010104F
	s_addc_u32 s17, 0, s17                                     // 000000005A88: 82111180
	buffer_load_dwordx4 a[0:3], v38, s[12:15], 0 offen         // 000000005A8C: E05C1000 80830026
	buffer_load_dwordx4 a[4:7], v38, s[12:15], 0 offen offset:1024// 000000005A94: E05C1400 80830426
	buffer_load_dwordx4 a[8:11], v39, s[12:15], 0 offen        // 000000005A9C: E05C1000 80830827
	buffer_load_dwordx4 a[12:15], v39, s[12:15], 0 offen offset:1024// 000000005AA4: E05C1400 80830C27
	v_mul_f32_e64 v46, -v96, s6                                // 000000005AAC: D105002E 20000D60
	v_mul_f32_e64 v47, -v97, s6                                // 000000005AB4: D105002F 20000D61
	v_mul_f32_e64 v48, -v98, s6                                // 000000005ABC: D1050030 20000D62
	v_mul_f32_e64 v49, -v99, s6                                // 000000005AC4: D1050031 20000D63
	v_exp_f32_e32 v46, v46                                     // 000000005ACC: 7E5C412E
	v_exp_f32_e32 v47, v47                                     // 000000005AD0: 7E5E412F
	v_exp_f32_e32 v48, v48                                     // 000000005AD4: 7E604130
	v_exp_f32_e32 v49, v49                                     // 000000005AD8: 7E624131
	buffer_load_dwordx4 a[16:19], v40, s[12:15], 0 offen       // 000000005ADC: E05C1000 80831028
	buffer_load_dwordx4 a[20:23], v40, s[12:15], 0 offen offset:1024// 000000005AE4: E05C1400 80831428
	buffer_load_dwordx4 a[24:27], v41, s[12:15], 0 offen       // 000000005AEC: E05C1000 80831829
	buffer_load_dwordx4 a[28:31], v41, s[12:15], 0 offen offset:1024// 000000005AF4: E05C1400 80831C29
	s_add_u32 s12, s56, s12                                    // 000000005AFC: 800C0C38
	s_addc_u32 s13, 0, s13                                     // 000000005B00: 820D0D80
	v_add_f32_e64 v46, v46, 1.0                                // 000000005B04: D101002E 0001E52E
	v_add_f32_e64 v47, v47, 1.0                                // 000000005B0C: D101002F 0001E52F
	v_add_f32_e64 v48, v48, 1.0                                // 000000005B14: D1010030 0001E530
	v_add_f32_e64 v49, v49, 1.0                                // 000000005B1C: D1010031 0001E531
	v_rcp_f32_e32 v46, v46                                     // 000000005B24: 7E5C452E
	v_rcp_f32_e32 v47, v47                                     // 000000005B28: 7E5E452F
	v_rcp_f32_e32 v48, v48                                     // 000000005B2C: 7E604530
	v_rcp_f32_e32 v49, v49                                     // 000000005B30: 7E624531
	v_mul_f32_e32 v96, v96, v46                                // 000000005B34: 0AC05D60
	v_mul_f32_e32 v97, v97, v47                                // 000000005B38: 0AC25F61
	v_mul_f32_e32 v98, v98, v48                                // 000000005B3C: 0AC46162
	v_mul_f32_e32 v99, v99, v49                                // 000000005B40: 0AC66363
	v_mul_f32_e32 v96, v96, v64                                // 000000005B44: 0AC08160
	v_mul_f32_e32 v97, v97, v65                                // 000000005B48: 0AC28361
	v_mul_f32_e32 v98, v98, v66                                // 000000005B4C: 0AC48562
	v_mul_f32_e32 v99, v99, v67                                // 000000005B50: 0AC68763
	s_waitcnt vmcnt(4)                                         // 000000005B54: BF8C0F74
	buffer_load_dword v22, v6, s[16:19], 0 offen               // 000000005B58: E0501000 80041606
	s_add_u32 s16, s79, s16                                    // 000000005B60: 8010104F
	s_addc_u32 s17, 0, s17                                     // 000000005B64: 82111180
	buffer_load_dwordx4 a[32:35], v38, s[12:15], 0 offen       // 000000005B68: E05C1000 80832026
	buffer_load_dwordx4 a[36:39], v38, s[12:15], 0 offen offset:1024// 000000005B70: E05C1400 80832426
	buffer_load_dwordx4 a[40:43], v39, s[12:15], 0 offen       // 000000005B78: E05C1000 80832827
	buffer_load_dwordx4 a[44:47], v39, s[12:15], 0 offen offset:1024// 000000005B80: E05C1400 80832C27
	v_mul_f32_e64 v46, -v100, s6                               // 000000005B88: D105002E 20000D64
	v_mul_f32_e64 v47, -v101, s6                               // 000000005B90: D105002F 20000D65
	v_mul_f32_e64 v48, -v102, s6                               // 000000005B98: D1050030 20000D66
	v_mul_f32_e64 v49, -v103, s6                               // 000000005BA0: D1050031 20000D67
	v_exp_f32_e32 v46, v46                                     // 000000005BA8: 7E5C412E
	v_exp_f32_e32 v47, v47                                     // 000000005BAC: 7E5E412F
	v_exp_f32_e32 v48, v48                                     // 000000005BB0: 7E604130
	v_exp_f32_e32 v49, v49                                     // 000000005BB4: 7E624131
	buffer_load_dwordx4 a[48:51], v40, s[12:15], 0 offen       // 000000005BB8: E05C1000 80833028
	buffer_load_dwordx4 a[52:55], v40, s[12:15], 0 offen offset:1024// 000000005BC0: E05C1400 80833428
	buffer_load_dwordx4 a[56:59], v41, s[12:15], 0 offen       // 000000005BC8: E05C1000 80833829
	buffer_load_dwordx4 a[60:63], v41, s[12:15], 0 offen offset:1024// 000000005BD0: E05C1400 80833C29
	s_add_u32 s12, s56, s12                                    // 000000005BD8: 800C0C38
	s_addc_u32 s13, 0, s13                                     // 000000005BDC: 820D0D80
	v_add_f32_e64 v46, v46, 1.0                                // 000000005BE0: D101002E 0001E52E
	v_add_f32_e64 v47, v47, 1.0                                // 000000005BE8: D101002F 0001E52F
	v_add_f32_e64 v48, v48, 1.0                                // 000000005BF0: D1010030 0001E530
	v_add_f32_e64 v49, v49, 1.0                                // 000000005BF8: D1010031 0001E531
	v_rcp_f32_e32 v46, v46                                     // 000000005C00: 7E5C452E
	v_rcp_f32_e32 v47, v47                                     // 000000005C04: 7E5E452F
	v_rcp_f32_e32 v48, v48                                     // 000000005C08: 7E604530
	v_rcp_f32_e32 v49, v49                                     // 000000005C0C: 7E624531
	v_mul_f32_e32 v100, v100, v46                              // 000000005C10: 0AC85D64
	v_mul_f32_e32 v101, v101, v47                              // 000000005C14: 0ACA5F65
	v_mul_f32_e32 v102, v102, v48                              // 000000005C18: 0ACC6166
	v_mul_f32_e32 v103, v103, v49                              // 000000005C1C: 0ACE6367
	v_mul_f32_e32 v100, v100, v68                              // 000000005C20: 0AC88964
	v_mul_f32_e32 v101, v101, v69                              // 000000005C24: 0ACA8B65
	v_mul_f32_e32 v102, v102, v70                              // 000000005C28: 0ACC8D66
	v_mul_f32_e32 v103, v103, v71                              // 000000005C2C: 0ACE8F67
	v_lshlrev_b32_e32 v46, 2, v0                               // 000000005C30: 245C0082
	s_mul_i32 s60, s82, s71                                    // 000000005C34: 923C4752
	v_add_u32_e64 v80, v46, s60                                // 000000005C38: D1340050 0000792E
	v_mov_b32_e32 v81, 0                                       // 000000005C40: 7EA20280
	s_mul_i32 s60, s83, s71                                    // 000000005C44: 923C4753
	v_add_u32_e64 v82, v46, s60                                // 000000005C48: D1340052 0000792E
	v_mov_b32_e32 v83, 0                                       // 000000005C50: 7EA60280
	s_mul_i32 s60, s84, s71                                    // 000000005C54: 923C4754
	v_add_u32_e64 v84, v46, s60                                // 000000005C58: D1340054 0000792E
	v_mov_b32_e32 v85, 0                                       // 000000005C60: 7EAA0280
	s_mul_i32 s60, s85, s71                                    // 000000005C64: 923C4755
	v_add_u32_e64 v86, v46, s60                                // 000000005C68: D1340056 0000792E
	v_mov_b32_e32 v87, 0                                       // 000000005C70: 7EAE0280
	v_mov_b32_e32 v30, 0x358637bd                              // 000000005C74: 7E3C02FF 358637BD
	v_max3_f32 v30, |v96|, |v97|, v30                          // 000000005C7C: D1D3031E 047AC360
	v_max3_f32 v30, |v98|, |v99|, v30                          // 000000005C84: D1D3031E 047AC762
	v_max3_f32 v30, |v100|, |v101|, v30                        // 000000005C8C: D1D3031E 047ACB64
	v_max3_f32 v30, |v102|, |v103|, v30                        // 000000005C94: D1D3031E 047ACF66
	v_mov_b32_e32 v46, v30                                     // 000000005C9C: 7E5C031E
	s_nop 1                                                    // 000000005CA0: BF800001
	v_permlane32_swap_b32_e32 v46, v30                         // 000000005CA4: 7E5CB51E
	v_max_f32_e32 v30, v46, v30                                // 000000005CA8: 163C3D2E
	v_mov_b32_e32 v46, v30                                     // 000000005CAC: 7E5C031E
	s_nop 1                                                    // 000000005CB0: BF800001
	v_permlane16_swap_b32_e32 v46, v30                         // 000000005CB4: 7E5CB31E
	v_max_f32_e32 v30, v46, v30                                // 000000005CB8: 163C3D2E
	v_lshlrev_b32_e32 v46, 2, v0                               // 000000005CBC: 245C0082
	s_mul_i32 s60, 64, s7                                      // 000000005CC0: 923C07C0
	v_add_u32_e32 v46, s60, v46                                // 000000005CC4: 685C5C3C
	s_mov_b32 s60, 0xffff                                      // 000000005CC8: BEBC00FF 0000FFFF
	s_mov_b32 s61, 0                                           // 000000005CD0: BEBD0080
	s_mov_b64 exec, s[60:61]                                   // 000000005CD4: BEFE013C
	ds_write_b32 v46, v30 offset:16128                         // 000000005CD8: D81A3F00 00001E2E
	s_mov_b32 s60, -1                                          // 000000005CE0: BEBC00C1
	s_mov_b32 s61, -1                                          // 000000005CE4: BEBD00C1
	s_mov_b64 exec, s[60:61]                                   // 000000005CE8: BEFE013C
	s_waitcnt lgkmcnt(0)                                       // 000000005CEC: BF8CC07F
	s_barrier                                                  // 000000005CF0: BF8A0000
	v_lshlrev_b32_e32 v46, 2, v0                               // 000000005CF4: 245C0082
	ds_read_b32 v104, v46 offset:16128                         // 000000005CF8: D86C3F00 6800002E
	s_waitcnt lgkmcnt(0)                                       // 000000005D00: BF8CC07F
	v_mov_b32_e32 v46, v104                                    // 000000005D04: 7E5C0368
	s_nop 1                                                    // 000000005D08: BF800001
	v_permlane32_swap_b32_e32 v46, v104                        // 000000005D0C: 7E5CB568
	v_max_f32_e32 v104, v46, v104                              // 000000005D10: 16D0D12E
	v_mov_b32_e32 v46, v104                                    // 000000005D14: 7E5C0368
	s_nop 1                                                    // 000000005D18: BF800001
	v_permlane16_swap_b32_e32 v46, v104                        // 000000005D1C: 7E5CB368
	v_max_f32_e32 v104, v46, v104                              // 000000005D20: 16D0D12E
	v_max_f32_e32 v30, v104, v30                               // 000000005D24: 163C3D68
	v_rcp_f32_e32 v30, v30                                     // 000000005D28: 7E3C451E
	v_mov_b32_e32 v46, 0x43e00000                              // 000000005D2C: 7E5C02FF 43E00000
	v_mul_f32_e32 v30, v46, v30                                // 000000005D34: 0A3C3D2E
	v_mul_f32_e32 v96, v30, v96                                // 000000005D38: 0AC0C11E
	v_mul_f32_e32 v97, v30, v97                                // 000000005D3C: 0AC2C31E
	v_mul_f32_e32 v98, v30, v98                                // 000000005D40: 0AC4C51E
	v_mul_f32_e32 v99, v30, v99                                // 000000005D44: 0AC6C71E
	v_cvt_pk_fp8_f32 v96, v96, v97                             // 000000005D48: D2A20060 0002C360
	v_cvt_pk_fp8_f32 v96, v98, v99 op_sel:[0,0,1]              // 000000005D50: D2A24060 0002C762
	v_mul_f32_e32 v100, v30, v100                              // 000000005D58: 0AC8C91E
	v_mul_f32_e32 v101, v30, v101                              // 000000005D5C: 0ACACB1E
	v_mul_f32_e32 v102, v30, v102                              // 000000005D60: 0ACCCD1E
	v_mul_f32_e32 v103, v30, v103                              // 000000005D64: 0ACECF1E
	v_cvt_pk_fp8_f32 v97, v100, v101                           // 000000005D68: D2A20061 0002CB64
	v_cvt_pk_fp8_f32 v97, v102, v103 op_sel:[0,0,1]            // 000000005D70: D2A24061 0002CF66
	v_rcp_f32_e32 v32, v30                                     // 000000005D78: 7E40451E
	v_lshrrev_b32_e32 v46, 5, v0                               // 000000005D7C: 205C0085
	v_lshlrev_b32_e32 v47, 6, v46                              // 000000005D80: 245E5C86
	v_and_b32_e32 v46, 31, v0                                  // 000000005D84: 265C009F
	v_lshrrev_b32_e32 v48, 4, v46                              // 000000005D88: 20605C84
	v_add_u32_e32 v47, v48, v47                                // 000000005D8C: 685E5F30
	v_and_b32_e32 v46, 15, v0                                  // 000000005D90: 265C008F
	v_lshlrev_b32_e32 v46, 1, v46                              // 000000005D94: 245C5C81
	v_add_u32_e32 v47, v46, v47                                // 000000005D98: 685E5F2E
	v_lshlrev_b32_e32 v46, 2, v47                              // 000000005D9C: 245C5E82
	s_mov_b32 s60, 0                                           // 000000005DA0: BEBC0080
	s_lshr_b32 s61, s7, 1                                      // 000000005DA4: 8F3D8107
	s_mul_i32 s61, s61, 0x200                                  // 000000005DA8: 923DFF3D 00000200
	s_add_u32 s60, s61, s60                                    // 000000005DB0: 803C3C3D
	s_and_b32 s61, s7, 1                                       // 000000005DB4: 863D8107
	s_mul_i32 s61, s61, 0x80                                   // 000000005DB8: 923DFF3D 00000080
	s_add_u32 s60, s61, s60                                    // 000000005DC0: 803C3C3D
	v_add_u32_e64 v46, v46, s60                                // 000000005DC4: D134002E 0000792E
	ds_write_b32 v46, v96 offset:17152                         // 000000005DCC: D81A4300 0000602E
	ds_write_b32 v46, v97 offset:18176                         // 000000005DD4: D81A4700 0000612E
	s_waitcnt lgkmcnt(0)                                       // 000000005DDC: BF8CC07F
	s_barrier                                                  // 000000005DE0: BF8A0000
	v_and_b32_e32 v46, 31, v0                                  // 000000005DE4: 265C009F
	v_lshrrev_b32_e32 v46, 4, v46                              // 000000005DE8: 205C5C84
	v_lshlrev_b32_e32 v47, 5, v46                              // 000000005DEC: 245E5C85
	v_lshrrev_b32_e32 v46, 5, v0                               // 000000005DF0: 205C0085
	v_lshlrev_b32_e32 v46, 7, v46                              // 000000005DF4: 245C5C87
	v_add_u32_e32 v47, v46, v47                                // 000000005DF8: 685E5F2E
	v_and_b32_e32 v46, 15, v0                                  // 000000005DFC: 265C008F
	v_lshlrev_b32_e32 v46, 1, v46                              // 000000005E00: 245C5C81
	v_add_u32_e32 v47, v46, v47                                // 000000005E04: 685E5F2E
	v_lshlrev_b32_e32 v46, 2, v47                              // 000000005E08: 245C5E82
	ds_read_b64 v[96:97], v46 offset:17152                     // 000000005E0C: D8EC4300 6000002E
	ds_read_b64 v[98:99], v46 offset:17408                     // 000000005E14: D8EC4400 6200002E
	ds_read_b64 v[100:101], v46 offset:18176                   // 000000005E1C: D8EC4700 6400002E
	ds_read_b64 v[102:103], v46 offset:18432                   // 000000005E24: D8EC4800 6600002E
	s_waitcnt lgkmcnt(0)                                       // 000000005E2C: BF8CC07F
	s_barrier                                                  // 000000005E30: BF8A0000
	v_mov_b32_e32 v112, 0                                      // 000000005E34: 7EE00280
	v_mov_b32_e32 v128, 0                                      // 000000005E38: 7F000280
	v_mov_b32_e32 v113, 0                                      // 000000005E3C: 7EE20280
	v_mov_b32_e32 v129, 0                                      // 000000005E40: 7F020280
	v_mov_b32_e32 v114, 0                                      // 000000005E44: 7EE40280
	v_mov_b32_e32 v130, 0                                      // 000000005E48: 7F040280
	v_mov_b32_e32 v115, 0                                      // 000000005E4C: 7EE60280
	v_mov_b32_e32 v131, 0                                      // 000000005E50: 7F060280
	v_mov_b32_e32 v116, 0                                      // 000000005E54: 7EE80280
	v_mov_b32_e32 v132, 0                                      // 000000005E58: 7F080280
	v_mov_b32_e32 v117, 0                                      // 000000005E5C: 7EEA0280
	v_mov_b32_e32 v133, 0                                      // 000000005E60: 7F0A0280
	v_mov_b32_e32 v118, 0                                      // 000000005E64: 7EEC0280
	v_mov_b32_e32 v134, 0                                      // 000000005E68: 7F0C0280
	v_mov_b32_e32 v119, 0                                      // 000000005E6C: 7EEE0280
	v_mov_b32_e32 v135, 0                                      // 000000005E70: 7F0E0280
	v_mov_b32_e32 v120, 0                                      // 000000005E74: 7EF00280
	v_mov_b32_e32 v136, 0                                      // 000000005E78: 7F100280
	v_mov_b32_e32 v121, 0                                      // 000000005E7C: 7EF20280
	v_mov_b32_e32 v137, 0                                      // 000000005E80: 7F120280
	v_mov_b32_e32 v122, 0                                      // 000000005E84: 7EF40280
	v_mov_b32_e32 v138, 0                                      // 000000005E88: 7F140280
	v_mov_b32_e32 v123, 0                                      // 000000005E8C: 7EF60280
	v_mov_b32_e32 v139, 0                                      // 000000005E90: 7F160280
	v_mov_b32_e32 v124, 0                                      // 000000005E94: 7EF80280
	v_mov_b32_e32 v140, 0                                      // 000000005E98: 7F180280
	v_mov_b32_e32 v125, 0                                      // 000000005E9C: 7EFA0280
	v_mov_b32_e32 v141, 0                                      // 000000005EA0: 7F1A0280
	v_mov_b32_e32 v126, 0                                      // 000000005EA4: 7EFC0280
	v_mov_b32_e32 v142, 0                                      // 000000005EA8: 7F1C0280
	v_mov_b32_e32 v127, 0                                      // 000000005EAC: 7EFE0280
	v_mov_b32_e32 v143, 0                                      // 000000005EB0: 7F1E0280
	ds_write_b64 v4, v[112:113] offset:17152                   // 000000005EB4: D89A4300 00007004
	ds_write_b64 v4, v[114:115] offset:19328                   // 000000005EBC: D89A4B80 00007204
	ds_write_b64 v4, v[116:117] offset:21504                   // 000000005EC4: D89A5400 00007404
	ds_write_b64 v4, v[118:119] offset:23680                   // 000000005ECC: D89A5C80 00007604
	s_mov_b32 s80, 0                                           // 000000005ED4: BED00080

0000000000005ed8 <label_0C36>:
	s_waitcnt vmcnt(13) lgkmcnt(0)                             // 000000005ED8: BF8C007D
	s_barrier                                                  // 000000005EDC: BF8A0000
	v_mfma_f32_16x16x128_f8f6f4 v[112:115], a[0:7], v[96:103], 0// 000000005EE0: D3AD0070 0A02C100
	buffer_load_dword v23, v6, s[16:19], 0 offen               // 000000005EE8: E0501000 80041706
	buffer_load_dwordx4 a[64:67], v38, s[12:15], 0 offen       // 000000005EF0: E05C1000 80834026
	buffer_load_dwordx4 a[68:71], v38, s[12:15], 0 offen offset:1024// 000000005EF8: E05C1400 80834426
	buffer_load_dwordx4 a[72:75], v39, s[12:15], 0 offen       // 000000005F00: E05C1000 80834827
	buffer_load_dwordx4 a[76:79], v39, s[12:15], 0 offen offset:1024// 000000005F08: E05C1400 80834C27
	v_mfma_f32_16x16x128_f8f6f4 v[116:119], a[8:15], v[96:103], 0// 000000005F10: D3AD0074 0A02C108
	ds_read_b32 v64, v5 offset:17152                           // 000000005F18: D86C4300 40000005
	ds_read_b32 v65, v5 offset:21504                           // 000000005F20: D86C5400 41000005
	ds_read_b32 v66, v5 offset:17160                           // 000000005F28: D86C4308 42000005
	ds_read_b32 v67, v5 offset:21512                           // 000000005F30: D86C5408 43000005
	ds_read_b32 v68, v5 offset:17184                           // 000000005F38: D86C4320 44000005
	ds_read_b32 v69, v5 offset:21536                           // 000000005F40: D86C5420 45000005
	ds_read_b32 v70, v5 offset:17192                           // 000000005F48: D86C4328 46000005
	ds_read_b32 v71, v5 offset:21544                           // 000000005F50: D86C5428 47000005
	s_waitcnt vmcnt(13)                                        // 000000005F58: BF8C0F7D
	v_mfma_f32_16x16x128_f8f6f4 v[120:123], a[16:23], v[96:103], 0// 000000005F5C: D3AD0078 0A02C110
	buffer_load_dwordx4 a[80:83], v40, s[12:15], 0 offen       // 000000005F64: E05C1000 80835028
	buffer_load_dwordx4 a[84:87], v40, s[12:15], 0 offen offset:1024// 000000005F6C: E05C1400 80835428
	buffer_load_dwordx4 a[88:91], v41, s[12:15], 0 offen       // 000000005F74: E05C1000 80835829
	buffer_load_dwordx4 a[92:95], v41, s[12:15], 0 offen offset:1024// 000000005F7C: E05C1400 80835C29
	v_mfma_f32_16x16x128_f8f6f4 v[124:127], a[24:31], v[96:103], 0// 000000005F84: D3AD007C 0A02C118
	ds_write_b64 v4, v[128:129] offset:34560                   // 000000005F8C: D89A8700 00008004
	ds_write_b64 v4, v[130:131] offset:36736                   // 000000005F94: D89A8F80 00008204
	ds_write_b64 v4, v[132:133] offset:38912                   // 000000005F9C: D89A9800 00008404
	ds_write_b64 v4, v[134:135] offset:41088                   // 000000005FA4: D89AA080 00008604
	v_mul_f32_dpp v46, v21, v32 row_newbcast:0 row_mask:0xf bank_mask:0xf// 000000005FAC: 0A5C40FA FF015015
	v_mov_b32_e32 v47, v46                                     // 000000005FB4: 7E5E032E
	v_pk_mul_f32 v[112:113], v[46:47], v[112:113]              // 000000005FB8: D3B14070 1802E12E
	v_pk_mul_f32 v[114:115], v[46:47], v[114:115]              // 000000005FC0: D3B14072 1802E52E
	v_pk_mul_f32 v[116:117], v[46:47], v[116:117]              // 000000005FC8: D3B14074 1802E92E
	v_pk_mul_f32 v[118:119], v[46:47], v[118:119]              // 000000005FD0: D3B14076 1802ED2E
	v_mul_f32_dpp v46, v21, v32 row_newbcast:1 row_mask:0xf bank_mask:0xf// 000000005FD8: 0A5C40FA FF015115
	v_mov_b32_e32 v47, v46                                     // 000000005FE0: 7E5E032E
	v_pk_mul_f32 v[120:121], v[46:47], v[120:121]              // 000000005FE4: D3B14078 1802F12E
	v_pk_mul_f32 v[122:123], v[46:47], v[122:123]              // 000000005FEC: D3B1407A 1802F52E
	v_pk_mul_f32 v[124:125], v[46:47], v[124:125]              // 000000005FF4: D3B1407C 1802F92E
	v_pk_mul_f32 v[126:127], v[46:47], v[126:127]              // 000000005FFC: D3B1407E 1802FD2E
	s_add_u32 s60, 0x300, s80                                  // 000000006004: 803C50FF 00000300
	s_cmp_lt_u32 s60, s81                                      // 00000000600C: BF0A513C
	s_cselect_b32 s56, s56, 0                                  // 000000006010: 85388038
	s_cselect_b32 s78, s78, 0                                  // 000000006014: 854E804E
	s_cselect_b32 s79, s79, 0                                  // 000000006018: 854F804F
	s_add_u32 s12, s56, s12                                    // 00000000601C: 800C0C38
	s_addc_u32 s13, 0, s13                                     // 000000006020: 820D0D80
	s_add_u32 s16, s79, s16                                    // 000000006024: 8010104F
	s_addc_u32 s17, 0, s17                                     // 000000006028: 82111180
	v_mov_b32_e32 v46, v27                                     // 00000000602C: 7E5C031B
	v_mov_b32_e32 v47, v27                                     // 000000006030: 7E5E031B
	v_pk_mul_f32 v[112:113], v[46:47], v[112:113]              // 000000006034: D3B14070 1802E12E
	v_pk_mul_f32 v[114:115], v[46:47], v[114:115]              // 00000000603C: D3B14072 1802E52E
	v_pk_mul_f32 v[116:117], v[46:47], v[116:117]              // 000000006044: D3B14074 1802E92E
	v_pk_mul_f32 v[118:119], v[46:47], v[118:119]              // 00000000604C: D3B14076 1802ED2E
	v_pk_mul_f32 v[120:121], v[46:47], v[120:121]              // 000000006054: D3B14078 1802F12E
	v_pk_mul_f32 v[122:123], v[46:47], v[122:123]              // 00000000605C: D3B1407A 1802F52E
	v_pk_mul_f32 v[124:125], v[46:47], v[124:125]              // 000000006064: D3B1407C 1802F92E
	v_pk_mul_f32 v[126:127], v[46:47], v[126:127]              // 00000000606C: D3B1407E 1802FD2E
	v_cvt_pk_bf16_f32 v112, v112, v113                         // 000000006074: D2680070 0002E370
	v_cvt_pk_bf16_f32 v113, v114, v115                         // 00000000607C: D2680071 0002E772
	v_cvt_pk_bf16_f32 v114, v116, v117                         // 000000006084: D2680072 0002EB74
	v_cvt_pk_bf16_f32 v115, v118, v119                         // 00000000608C: D2680073 0002EF76
	v_cvt_pk_bf16_f32 v116, v120, v121                         // 000000006094: D2680074 0002F378
	v_cvt_pk_bf16_f32 v117, v122, v123                         // 00000000609C: D2680075 0002F77A
	v_cvt_pk_bf16_f32 v118, v124, v125                         // 0000000060A4: D2680076 0002FB7C
	v_cvt_pk_bf16_f32 v119, v126, v127                         // 0000000060AC: D2680077 0002FF7E
	s_cmp_ge_u32 s80, 0x200                                    // 0000000060B4: BF09FF50 00000200
	s_cselect_b32 s59, 0x200, s59                              // 0000000060BC: 853B3BFF 00000200
	s_waitcnt lgkmcnt(0)                                       // 0000000060C4: BF8CC07F
	s_barrier                                                  // 0000000060C8: BF8A0000
	s_setvskip s20, 0                                          // 0000000060CC: BF108014
	global_atomic_pk_add_bf16 v80, v64, s[8:9]                 // 0000000060D0: DD488000 00084050
	s_setvskip 0, 0                                            // 0000000060D8: BF108080
	s_setvskip s20, 0                                          // 0000000060DC: BF108014
	global_atomic_pk_add_bf16 v80, v65, s[8:9] offset:256      // 0000000060E0: DD488100 00084150
	s_setvskip 0, 0                                            // 0000000060E8: BF108080
	s_setvskip s20, 1                                          // 0000000060EC: BF108114
	global_atomic_pk_add_bf16 v82, v66, s[8:9]                 // 0000000060F0: DD488000 00084252
	s_setvskip 0, 0                                            // 0000000060F8: BF108080
	s_setvskip s20, 1                                          // 0000000060FC: BF108114
	global_atomic_pk_add_bf16 v82, v67, s[8:9] offset:256      // 000000006100: DD488100 00084352
	s_setvskip 0, 0                                            // 000000006108: BF108080
	s_setvskip s20, 2                                          // 00000000610C: BF108214
	global_atomic_pk_add_bf16 v84, v68, s[8:9]                 // 000000006110: DD488000 00084454
	s_setvskip 0, 0                                            // 000000006118: BF108080
	s_setvskip s20, 2                                          // 00000000611C: BF108214
	global_atomic_pk_add_bf16 v84, v69, s[8:9] offset:256      // 000000006120: DD488100 00084554
	s_setvskip 0, 0                                            // 000000006128: BF108080
	s_setvskip s20, 3                                          // 00000000612C: BF108314
	global_atomic_pk_add_bf16 v86, v70, s[8:9]                 // 000000006130: DD488000 00084656
	s_setvskip 0, 0                                            // 000000006138: BF108080
	s_setvskip s20, 3                                          // 00000000613C: BF108314
	global_atomic_pk_add_bf16 v86, v71, s[8:9] offset:256      // 000000006140: DD488100 00084756
	s_setvskip 0, 0                                            // 000000006148: BF108080
	s_add_u32 s8, s59, s8                                      // 00000000614C: 8008083B
	s_addc_u32 s9, 0, s9                                       // 000000006150: 82090980
	s_addk_i32 s80, 0x100                                      // 000000006154: B7500100
	s_cmp_lt_i32 s80, s81                                      // 000000006158: BF045150
	s_cbranch_scc0 label_093C                                  // 00000000615C: BF84FC64
	s_waitcnt vmcnt(13) lgkmcnt(0)                             // 000000006160: BF8C007D
	s_barrier                                                  // 000000006164: BF8A0000
	v_mfma_f32_16x16x128_f8f6f4 v[128:131], a[32:39], v[96:103], 0// 000000006168: D3AD0080 0A02C120
	buffer_load_dword v21, v6, s[16:19], 0 offen               // 000000006170: E0501000 80041506
	buffer_load_dwordx4 a[0:3], v38, s[12:15], 0 offen         // 000000006178: E05C1000 80830026
	buffer_load_dwordx4 a[4:7], v38, s[12:15], 0 offen offset:1024// 000000006180: E05C1400 80830426
	buffer_load_dwordx4 a[8:11], v39, s[12:15], 0 offen        // 000000006188: E05C1000 80830827
	buffer_load_dwordx4 a[12:15], v39, s[12:15], 0 offen offset:1024// 000000006190: E05C1400 80830C27
	v_mfma_f32_16x16x128_f8f6f4 v[132:135], a[40:47], v[96:103], 0// 000000006198: D3AD0084 0A02C128
	ds_read_b32 v64, v5 offset:34560                           // 0000000061A0: D86C8700 40000005
	ds_read_b32 v65, v5 offset:38912                           // 0000000061A8: D86C9800 41000005
	ds_read_b32 v66, v5 offset:34568                           // 0000000061B0: D86C8708 42000005
	ds_read_b32 v67, v5 offset:38920                           // 0000000061B8: D86C9808 43000005
	ds_read_b32 v68, v5 offset:34592                           // 0000000061C0: D86C8720 44000005
	ds_read_b32 v69, v5 offset:38944                           // 0000000061C8: D86C9820 45000005
	ds_read_b32 v70, v5 offset:34600                           // 0000000061D0: D86C8728 46000005
	ds_read_b32 v71, v5 offset:38952                           // 0000000061D8: D86C9828 47000005
	s_waitcnt vmcnt(13)                                        // 0000000061E0: BF8C0F7D
	v_mfma_f32_16x16x128_f8f6f4 v[136:139], a[48:55], v[96:103], 0// 0000000061E4: D3AD0088 0A02C130
	buffer_load_dwordx4 a[16:19], v40, s[12:15], 0 offen       // 0000000061EC: E05C1000 80831028
	buffer_load_dwordx4 a[20:23], v40, s[12:15], 0 offen offset:1024// 0000000061F4: E05C1400 80831428
	buffer_load_dwordx4 a[24:27], v41, s[12:15], 0 offen       // 0000000061FC: E05C1000 80831829
	buffer_load_dwordx4 a[28:31], v41, s[12:15], 0 offen offset:1024// 000000006204: E05C1400 80831C29
	v_mfma_f32_16x16x128_f8f6f4 v[140:143], a[56:63], v[96:103], 0// 00000000620C: D3AD008C 0A02C138
	ds_write_b64 v4, v[112:113] offset:17152                   // 000000006214: D89A4300 00007004
	ds_write_b64 v4, v[114:115] offset:19328                   // 00000000621C: D89A4B80 00007204
	ds_write_b64 v4, v[116:117] offset:21504                   // 000000006224: D89A5400 00007404
	ds_write_b64 v4, v[118:119] offset:23680                   // 00000000622C: D89A5C80 00007604
	v_mul_f32_dpp v46, v22, v32 row_newbcast:0 row_mask:0xf bank_mask:0xf// 000000006234: 0A5C40FA FF015016
	v_mov_b32_e32 v47, v46                                     // 00000000623C: 7E5E032E
	v_pk_mul_f32 v[128:129], v[46:47], v[128:129]              // 000000006240: D3B14080 1803012E
	v_pk_mul_f32 v[130:131], v[46:47], v[130:131]              // 000000006248: D3B14082 1803052E
	v_pk_mul_f32 v[132:133], v[46:47], v[132:133]              // 000000006250: D3B14084 1803092E
	v_pk_mul_f32 v[134:135], v[46:47], v[134:135]              // 000000006258: D3B14086 18030D2E
	v_mul_f32_dpp v46, v22, v32 row_newbcast:1 row_mask:0xf bank_mask:0xf// 000000006260: 0A5C40FA FF015116
	v_mov_b32_e32 v47, v46                                     // 000000006268: 7E5E032E
	v_pk_mul_f32 v[136:137], v[46:47], v[136:137]              // 00000000626C: D3B14088 1803112E
	v_pk_mul_f32 v[138:139], v[46:47], v[138:139]              // 000000006274: D3B1408A 1803152E
	v_pk_mul_f32 v[140:141], v[46:47], v[140:141]              // 00000000627C: D3B1408C 1803192E
	v_pk_mul_f32 v[142:143], v[46:47], v[142:143]              // 000000006284: D3B1408E 18031D2E
	s_add_u32 s60, 0x300, s80                                  // 00000000628C: 803C50FF 00000300
	s_cmp_lt_u32 s60, s81                                      // 000000006294: BF0A513C
	s_cselect_b32 s56, s56, 0                                  // 000000006298: 85388038
	s_cselect_b32 s78, s78, 0                                  // 00000000629C: 854E804E
	s_cselect_b32 s79, s79, 0                                  // 0000000062A0: 854F804F
	s_add_u32 s12, s56, s12                                    // 0000000062A4: 800C0C38
	s_addc_u32 s13, 0, s13                                     // 0000000062A8: 820D0D80
	s_add_u32 s16, s79, s16                                    // 0000000062AC: 8010104F
	s_addc_u32 s17, 0, s17                                     // 0000000062B0: 82111180
	v_mov_b32_e32 v46, v27                                     // 0000000062B4: 7E5C031B
	v_mov_b32_e32 v47, v27                                     // 0000000062B8: 7E5E031B
	v_pk_mul_f32 v[128:129], v[46:47], v[128:129]              // 0000000062BC: D3B14080 1803012E
	v_pk_mul_f32 v[130:131], v[46:47], v[130:131]              // 0000000062C4: D3B14082 1803052E
	v_pk_mul_f32 v[132:133], v[46:47], v[132:133]              // 0000000062CC: D3B14084 1803092E
	v_pk_mul_f32 v[134:135], v[46:47], v[134:135]              // 0000000062D4: D3B14086 18030D2E
	v_pk_mul_f32 v[136:137], v[46:47], v[136:137]              // 0000000062DC: D3B14088 1803112E
	v_pk_mul_f32 v[138:139], v[46:47], v[138:139]              // 0000000062E4: D3B1408A 1803152E
	v_pk_mul_f32 v[140:141], v[46:47], v[140:141]              // 0000000062EC: D3B1408C 1803192E
	v_pk_mul_f32 v[142:143], v[46:47], v[142:143]              // 0000000062F4: D3B1408E 18031D2E
	v_cvt_pk_bf16_f32 v128, v128, v129                         // 0000000062FC: D2680080 00030380
	v_cvt_pk_bf16_f32 v129, v130, v131                         // 000000006304: D2680081 00030782
	v_cvt_pk_bf16_f32 v130, v132, v133                         // 00000000630C: D2680082 00030B84
	v_cvt_pk_bf16_f32 v131, v134, v135                         // 000000006314: D2680083 00030F86
	v_cvt_pk_bf16_f32 v132, v136, v137                         // 00000000631C: D2680084 00031388
	v_cvt_pk_bf16_f32 v133, v138, v139                         // 000000006324: D2680085 0003178A
	v_cvt_pk_bf16_f32 v134, v140, v141                         // 00000000632C: D2680086 00031B8C
	v_cvt_pk_bf16_f32 v135, v142, v143                         // 000000006334: D2680087 00031F8E
	s_cmp_ge_u32 s80, 0x200                                    // 00000000633C: BF09FF50 00000200
	s_cselect_b32 s59, 0x200, s59                              // 000000006344: 853B3BFF 00000200
	s_waitcnt lgkmcnt(0)                                       // 00000000634C: BF8CC07F
	s_barrier                                                  // 000000006350: BF8A0000
	s_setvskip s20, 0                                          // 000000006354: BF108014
	global_atomic_pk_add_bf16 v80, v64, s[8:9]                 // 000000006358: DD488000 00084050
	s_setvskip 0, 0                                            // 000000006360: BF108080
	s_setvskip s20, 0                                          // 000000006364: BF108014
	global_atomic_pk_add_bf16 v80, v65, s[8:9] offset:256      // 000000006368: DD488100 00084150
	s_setvskip 0, 0                                            // 000000006370: BF108080
	s_setvskip s20, 1                                          // 000000006374: BF108114
	global_atomic_pk_add_bf16 v82, v66, s[8:9]                 // 000000006378: DD488000 00084252
	s_setvskip 0, 0                                            // 000000006380: BF108080
	s_setvskip s20, 1                                          // 000000006384: BF108114
	global_atomic_pk_add_bf16 v82, v67, s[8:9] offset:256      // 000000006388: DD488100 00084352
	s_setvskip 0, 0                                            // 000000006390: BF108080
	s_setvskip s20, 2                                          // 000000006394: BF108214
	global_atomic_pk_add_bf16 v84, v68, s[8:9]                 // 000000006398: DD488000 00084454
	s_setvskip 0, 0                                            // 0000000063A0: BF108080
	s_setvskip s20, 2                                          // 0000000063A4: BF108214
	global_atomic_pk_add_bf16 v84, v69, s[8:9] offset:256      // 0000000063A8: DD488100 00084554
	s_setvskip 0, 0                                            // 0000000063B0: BF108080
	s_setvskip s20, 3                                          // 0000000063B4: BF108314
	global_atomic_pk_add_bf16 v86, v70, s[8:9]                 // 0000000063B8: DD488000 00084656
	s_setvskip 0, 0                                            // 0000000063C0: BF108080
	s_setvskip s20, 3                                          // 0000000063C4: BF108314
	global_atomic_pk_add_bf16 v86, v71, s[8:9] offset:256      // 0000000063C8: DD488100 00084756
	s_setvskip 0, 0                                            // 0000000063D0: BF108080
	s_add_u32 s8, s59, s8                                      // 0000000063D4: 8008083B
	s_addc_u32 s9, 0, s9                                       // 0000000063D8: 82090980
	s_addk_i32 s80, 0x100                                      // 0000000063DC: B7500100
	s_cmp_lt_i32 s80, s81                                      // 0000000063E0: BF045150
	s_cbranch_scc0 label_093C                                  // 0000000063E4: BF84FBC2
	s_waitcnt vmcnt(13) lgkmcnt(0)                             // 0000000063E8: BF8C007D
	s_barrier                                                  // 0000000063EC: BF8A0000
	v_mfma_f32_16x16x128_f8f6f4 v[112:115], a[64:71], v[96:103], 0// 0000000063F0: D3AD0070 0A02C140
	buffer_load_dword v22, v6, s[16:19], 0 offen               // 0000000063F8: E0501000 80041606
	buffer_load_dwordx4 a[32:35], v38, s[12:15], 0 offen       // 000000006400: E05C1000 80832026
	buffer_load_dwordx4 a[36:39], v38, s[12:15], 0 offen offset:1024// 000000006408: E05C1400 80832426
	buffer_load_dwordx4 a[40:43], v39, s[12:15], 0 offen       // 000000006410: E05C1000 80832827
	buffer_load_dwordx4 a[44:47], v39, s[12:15], 0 offen offset:1024// 000000006418: E05C1400 80832C27
	v_mfma_f32_16x16x128_f8f6f4 v[116:119], a[72:79], v[96:103], 0// 000000006420: D3AD0074 0A02C148
	ds_read_b32 v64, v5 offset:17152                           // 000000006428: D86C4300 40000005
	ds_read_b32 v65, v5 offset:21504                           // 000000006430: D86C5400 41000005
	ds_read_b32 v66, v5 offset:17160                           // 000000006438: D86C4308 42000005
	ds_read_b32 v67, v5 offset:21512                           // 000000006440: D86C5408 43000005
	ds_read_b32 v68, v5 offset:17184                           // 000000006448: D86C4320 44000005
	ds_read_b32 v69, v5 offset:21536                           // 000000006450: D86C5420 45000005
	ds_read_b32 v70, v5 offset:17192                           // 000000006458: D86C4328 46000005
	ds_read_b32 v71, v5 offset:21544                           // 000000006460: D86C5428 47000005
	s_waitcnt vmcnt(13)                                        // 000000006468: BF8C0F7D
	v_mfma_f32_16x16x128_f8f6f4 v[120:123], a[80:87], v[96:103], 0// 00000000646C: D3AD0078 0A02C150
	buffer_load_dwordx4 a[48:51], v40, s[12:15], 0 offen       // 000000006474: E05C1000 80833028
	buffer_load_dwordx4 a[52:55], v40, s[12:15], 0 offen offset:1024// 00000000647C: E05C1400 80833428
	buffer_load_dwordx4 a[56:59], v41, s[12:15], 0 offen       // 000000006484: E05C1000 80833829
	buffer_load_dwordx4 a[60:63], v41, s[12:15], 0 offen offset:1024// 00000000648C: E05C1400 80833C29
	v_mfma_f32_16x16x128_f8f6f4 v[124:127], a[88:95], v[96:103], 0// 000000006494: D3AD007C 0A02C158
	ds_write_b64 v4, v[128:129] offset:34560                   // 00000000649C: D89A8700 00008004
	ds_write_b64 v4, v[130:131] offset:36736                   // 0000000064A4: D89A8F80 00008204
	ds_write_b64 v4, v[132:133] offset:38912                   // 0000000064AC: D89A9800 00008404
	ds_write_b64 v4, v[134:135] offset:41088                   // 0000000064B4: D89AA080 00008604
	v_mul_f32_dpp v46, v23, v32 row_newbcast:0 row_mask:0xf bank_mask:0xf// 0000000064BC: 0A5C40FA FF015017
	v_mov_b32_e32 v47, v46                                     // 0000000064C4: 7E5E032E
	v_pk_mul_f32 v[112:113], v[46:47], v[112:113]              // 0000000064C8: D3B14070 1802E12E
	v_pk_mul_f32 v[114:115], v[46:47], v[114:115]              // 0000000064D0: D3B14072 1802E52E
	v_pk_mul_f32 v[116:117], v[46:47], v[116:117]              // 0000000064D8: D3B14074 1802E92E
	v_pk_mul_f32 v[118:119], v[46:47], v[118:119]              // 0000000064E0: D3B14076 1802ED2E
	v_mul_f32_dpp v46, v23, v32 row_newbcast:1 row_mask:0xf bank_mask:0xf// 0000000064E8: 0A5C40FA FF015117
	v_mov_b32_e32 v47, v46                                     // 0000000064F0: 7E5E032E
	v_pk_mul_f32 v[120:121], v[46:47], v[120:121]              // 0000000064F4: D3B14078 1802F12E
	v_pk_mul_f32 v[122:123], v[46:47], v[122:123]              // 0000000064FC: D3B1407A 1802F52E
	v_pk_mul_f32 v[124:125], v[46:47], v[124:125]              // 000000006504: D3B1407C 1802F92E
	v_pk_mul_f32 v[126:127], v[46:47], v[126:127]              // 00000000650C: D3B1407E 1802FD2E
	s_add_u32 s60, 0x300, s80                                  // 000000006514: 803C50FF 00000300
	s_cmp_lt_u32 s60, s81                                      // 00000000651C: BF0A513C
	s_cselect_b32 s56, s56, 0                                  // 000000006520: 85388038
	s_cselect_b32 s78, s78, 0                                  // 000000006524: 854E804E
	s_cselect_b32 s79, s79, 0                                  // 000000006528: 854F804F
	s_add_u32 s12, s56, s12                                    // 00000000652C: 800C0C38
	s_addc_u32 s13, 0, s13                                     // 000000006530: 820D0D80
	s_add_u32 s16, s79, s16                                    // 000000006534: 8010104F
	s_addc_u32 s17, 0, s17                                     // 000000006538: 82111180
	v_mov_b32_e32 v46, v27                                     // 00000000653C: 7E5C031B
	v_mov_b32_e32 v47, v27                                     // 000000006540: 7E5E031B
	v_pk_mul_f32 v[112:113], v[46:47], v[112:113]              // 000000006544: D3B14070 1802E12E
	v_pk_mul_f32 v[114:115], v[46:47], v[114:115]              // 00000000654C: D3B14072 1802E52E
	v_pk_mul_f32 v[116:117], v[46:47], v[116:117]              // 000000006554: D3B14074 1802E92E
	v_pk_mul_f32 v[118:119], v[46:47], v[118:119]              // 00000000655C: D3B14076 1802ED2E
	v_pk_mul_f32 v[120:121], v[46:47], v[120:121]              // 000000006564: D3B14078 1802F12E
	v_pk_mul_f32 v[122:123], v[46:47], v[122:123]              // 00000000656C: D3B1407A 1802F52E
	v_pk_mul_f32 v[124:125], v[46:47], v[124:125]              // 000000006574: D3B1407C 1802F92E
	v_pk_mul_f32 v[126:127], v[46:47], v[126:127]              // 00000000657C: D3B1407E 1802FD2E
	v_cvt_pk_bf16_f32 v112, v112, v113                         // 000000006584: D2680070 0002E370
	v_cvt_pk_bf16_f32 v113, v114, v115                         // 00000000658C: D2680071 0002E772
	v_cvt_pk_bf16_f32 v114, v116, v117                         // 000000006594: D2680072 0002EB74
	v_cvt_pk_bf16_f32 v115, v118, v119                         // 00000000659C: D2680073 0002EF76
	v_cvt_pk_bf16_f32 v116, v120, v121                         // 0000000065A4: D2680074 0002F378
	v_cvt_pk_bf16_f32 v117, v122, v123                         // 0000000065AC: D2680075 0002F77A
	v_cvt_pk_bf16_f32 v118, v124, v125                         // 0000000065B4: D2680076 0002FB7C
	v_cvt_pk_bf16_f32 v119, v126, v127                         // 0000000065BC: D2680077 0002FF7E
	s_cmp_ge_u32 s80, 0x200                                    // 0000000065C4: BF09FF50 00000200
	s_cselect_b32 s59, 0x200, s59                              // 0000000065CC: 853B3BFF 00000200
	s_waitcnt lgkmcnt(0)                                       // 0000000065D4: BF8CC07F
	s_barrier                                                  // 0000000065D8: BF8A0000
	s_setvskip s20, 0                                          // 0000000065DC: BF108014
	global_atomic_pk_add_bf16 v80, v64, s[8:9]                 // 0000000065E0: DD488000 00084050
	s_setvskip 0, 0                                            // 0000000065E8: BF108080
	s_setvskip s20, 0                                          // 0000000065EC: BF108014
	global_atomic_pk_add_bf16 v80, v65, s[8:9] offset:256      // 0000000065F0: DD488100 00084150
	s_setvskip 0, 0                                            // 0000000065F8: BF108080
	s_setvskip s20, 1                                          // 0000000065FC: BF108114
	global_atomic_pk_add_bf16 v82, v66, s[8:9]                 // 000000006600: DD488000 00084252
	s_setvskip 0, 0                                            // 000000006608: BF108080
	s_setvskip s20, 1                                          // 00000000660C: BF108114
	global_atomic_pk_add_bf16 v82, v67, s[8:9] offset:256      // 000000006610: DD488100 00084352
	s_setvskip 0, 0                                            // 000000006618: BF108080
	s_setvskip s20, 2                                          // 00000000661C: BF108214
	global_atomic_pk_add_bf16 v84, v68, s[8:9]                 // 000000006620: DD488000 00084454
	s_setvskip 0, 0                                            // 000000006628: BF108080
	s_setvskip s20, 2                                          // 00000000662C: BF108214
	global_atomic_pk_add_bf16 v84, v69, s[8:9] offset:256      // 000000006630: DD488100 00084554
	s_setvskip 0, 0                                            // 000000006638: BF108080
	s_setvskip s20, 3                                          // 00000000663C: BF108314
	global_atomic_pk_add_bf16 v86, v70, s[8:9]                 // 000000006640: DD488000 00084656
	s_setvskip 0, 0                                            // 000000006648: BF108080
	s_setvskip s20, 3                                          // 00000000664C: BF108314
	global_atomic_pk_add_bf16 v86, v71, s[8:9] offset:256      // 000000006650: DD488100 00084756
	s_setvskip 0, 0                                            // 000000006658: BF108080
	s_add_u32 s8, s59, s8                                      // 00000000665C: 8008083B
	s_addc_u32 s9, 0, s9                                       // 000000006660: 82090980
	s_addk_i32 s80, 0x100                                      // 000000006664: B7500100
	s_cmp_lt_i32 s80, s81                                      // 000000006668: BF045150
	s_cbranch_scc0 label_093C                                  // 00000000666C: BF84FB20
	s_waitcnt vmcnt(13) lgkmcnt(0)                             // 000000006670: BF8C007D
	s_barrier                                                  // 000000006674: BF8A0000
	v_mfma_f32_16x16x128_f8f6f4 v[128:131], a[0:7], v[96:103], 0// 000000006678: D3AD0080 0A02C100
	buffer_load_dword v23, v6, s[16:19], 0 offen               // 000000006680: E0501000 80041706
	buffer_load_dwordx4 a[64:67], v38, s[12:15], 0 offen       // 000000006688: E05C1000 80834026
	buffer_load_dwordx4 a[68:71], v38, s[12:15], 0 offen offset:1024// 000000006690: E05C1400 80834426
	buffer_load_dwordx4 a[72:75], v39, s[12:15], 0 offen       // 000000006698: E05C1000 80834827
	buffer_load_dwordx4 a[76:79], v39, s[12:15], 0 offen offset:1024// 0000000066A0: E05C1400 80834C27
	v_mfma_f32_16x16x128_f8f6f4 v[132:135], a[8:15], v[96:103], 0// 0000000066A8: D3AD0084 0A02C108
	ds_read_b32 v64, v5 offset:34560                           // 0000000066B0: D86C8700 40000005
	ds_read_b32 v65, v5 offset:38912                           // 0000000066B8: D86C9800 41000005
	ds_read_b32 v66, v5 offset:34568                           // 0000000066C0: D86C8708 42000005
	ds_read_b32 v67, v5 offset:38920                           // 0000000066C8: D86C9808 43000005
	ds_read_b32 v68, v5 offset:34592                           // 0000000066D0: D86C8720 44000005
	ds_read_b32 v69, v5 offset:38944                           // 0000000066D8: D86C9820 45000005
	ds_read_b32 v70, v5 offset:34600                           // 0000000066E0: D86C8728 46000005
	ds_read_b32 v71, v5 offset:38952                           // 0000000066E8: D86C9828 47000005
	s_waitcnt vmcnt(13)                                        // 0000000066F0: BF8C0F7D
	v_mfma_f32_16x16x128_f8f6f4 v[136:139], a[16:23], v[96:103], 0// 0000000066F4: D3AD0088 0A02C110
	buffer_load_dwordx4 a[80:83], v40, s[12:15], 0 offen       // 0000000066FC: E05C1000 80835028
	buffer_load_dwordx4 a[84:87], v40, s[12:15], 0 offen offset:1024// 000000006704: E05C1400 80835428
	buffer_load_dwordx4 a[88:91], v41, s[12:15], 0 offen       // 00000000670C: E05C1000 80835829
	buffer_load_dwordx4 a[92:95], v41, s[12:15], 0 offen offset:1024// 000000006714: E05C1400 80835C29
	v_mfma_f32_16x16x128_f8f6f4 v[140:143], a[24:31], v[96:103], 0// 00000000671C: D3AD008C 0A02C118
	ds_write_b64 v4, v[112:113] offset:17152                   // 000000006724: D89A4300 00007004
	ds_write_b64 v4, v[114:115] offset:19328                   // 00000000672C: D89A4B80 00007204
	ds_write_b64 v4, v[116:117] offset:21504                   // 000000006734: D89A5400 00007404
	ds_write_b64 v4, v[118:119] offset:23680                   // 00000000673C: D89A5C80 00007604
	v_mul_f32_dpp v46, v21, v32 row_newbcast:0 row_mask:0xf bank_mask:0xf// 000000006744: 0A5C40FA FF015015
	v_mov_b32_e32 v47, v46                                     // 00000000674C: 7E5E032E
	v_pk_mul_f32 v[128:129], v[46:47], v[128:129]              // 000000006750: D3B14080 1803012E
	v_pk_mul_f32 v[130:131], v[46:47], v[130:131]              // 000000006758: D3B14082 1803052E
	v_pk_mul_f32 v[132:133], v[46:47], v[132:133]              // 000000006760: D3B14084 1803092E
	v_pk_mul_f32 v[134:135], v[46:47], v[134:135]              // 000000006768: D3B14086 18030D2E
	v_mul_f32_dpp v46, v21, v32 row_newbcast:1 row_mask:0xf bank_mask:0xf// 000000006770: 0A5C40FA FF015115
	v_mov_b32_e32 v47, v46                                     // 000000006778: 7E5E032E
	v_pk_mul_f32 v[136:137], v[46:47], v[136:137]              // 00000000677C: D3B14088 1803112E
	v_pk_mul_f32 v[138:139], v[46:47], v[138:139]              // 000000006784: D3B1408A 1803152E
	v_pk_mul_f32 v[140:141], v[46:47], v[140:141]              // 00000000678C: D3B1408C 1803192E
	v_pk_mul_f32 v[142:143], v[46:47], v[142:143]              // 000000006794: D3B1408E 18031D2E
	s_add_u32 s60, 0x300, s80                                  // 00000000679C: 803C50FF 00000300
	s_cmp_lt_u32 s60, s81                                      // 0000000067A4: BF0A513C
	s_cselect_b32 s56, s56, 0                                  // 0000000067A8: 85388038
	s_cselect_b32 s78, s78, 0                                  // 0000000067AC: 854E804E
	s_cselect_b32 s79, s79, 0                                  // 0000000067B0: 854F804F
	s_add_u32 s12, s56, s12                                    // 0000000067B4: 800C0C38
	s_addc_u32 s13, 0, s13                                     // 0000000067B8: 820D0D80
	s_add_u32 s16, s79, s16                                    // 0000000067BC: 8010104F
	s_addc_u32 s17, 0, s17                                     // 0000000067C0: 82111180
	v_mov_b32_e32 v46, v27                                     // 0000000067C4: 7E5C031B
	v_mov_b32_e32 v47, v27                                     // 0000000067C8: 7E5E031B
	v_pk_mul_f32 v[128:129], v[46:47], v[128:129]              // 0000000067CC: D3B14080 1803012E
	v_pk_mul_f32 v[130:131], v[46:47], v[130:131]              // 0000000067D4: D3B14082 1803052E
	v_pk_mul_f32 v[132:133], v[46:47], v[132:133]              // 0000000067DC: D3B14084 1803092E
	v_pk_mul_f32 v[134:135], v[46:47], v[134:135]              // 0000000067E4: D3B14086 18030D2E
	v_pk_mul_f32 v[136:137], v[46:47], v[136:137]              // 0000000067EC: D3B14088 1803112E
	v_pk_mul_f32 v[138:139], v[46:47], v[138:139]              // 0000000067F4: D3B1408A 1803152E
	v_pk_mul_f32 v[140:141], v[46:47], v[140:141]              // 0000000067FC: D3B1408C 1803192E
	v_pk_mul_f32 v[142:143], v[46:47], v[142:143]              // 000000006804: D3B1408E 18031D2E
	v_cvt_pk_bf16_f32 v128, v128, v129                         // 00000000680C: D2680080 00030380
	v_cvt_pk_bf16_f32 v129, v130, v131                         // 000000006814: D2680081 00030782
	v_cvt_pk_bf16_f32 v130, v132, v133                         // 00000000681C: D2680082 00030B84
	v_cvt_pk_bf16_f32 v131, v134, v135                         // 000000006824: D2680083 00030F86
	v_cvt_pk_bf16_f32 v132, v136, v137                         // 00000000682C: D2680084 00031388
	v_cvt_pk_bf16_f32 v133, v138, v139                         // 000000006834: D2680085 0003178A
	v_cvt_pk_bf16_f32 v134, v140, v141                         // 00000000683C: D2680086 00031B8C
	v_cvt_pk_bf16_f32 v135, v142, v143                         // 000000006844: D2680087 00031F8E
	s_cmp_ge_u32 s80, 0x200                                    // 00000000684C: BF09FF50 00000200
	s_cselect_b32 s59, 0x200, s59                              // 000000006854: 853B3BFF 00000200
	s_waitcnt lgkmcnt(0)                                       // 00000000685C: BF8CC07F
	s_barrier                                                  // 000000006860: BF8A0000
	s_setvskip s20, 0                                          // 000000006864: BF108014
	global_atomic_pk_add_bf16 v80, v64, s[8:9]                 // 000000006868: DD488000 00084050
	s_setvskip 0, 0                                            // 000000006870: BF108080
	s_setvskip s20, 0                                          // 000000006874: BF108014
	global_atomic_pk_add_bf16 v80, v65, s[8:9] offset:256      // 000000006878: DD488100 00084150
	s_setvskip 0, 0                                            // 000000006880: BF108080
	s_setvskip s20, 1                                          // 000000006884: BF108114
	global_atomic_pk_add_bf16 v82, v66, s[8:9]                 // 000000006888: DD488000 00084252
	s_setvskip 0, 0                                            // 000000006890: BF108080
	s_setvskip s20, 1                                          // 000000006894: BF108114
	global_atomic_pk_add_bf16 v82, v67, s[8:9] offset:256      // 000000006898: DD488100 00084352
	s_setvskip 0, 0                                            // 0000000068A0: BF108080
	s_setvskip s20, 2                                          // 0000000068A4: BF108214
	global_atomic_pk_add_bf16 v84, v68, s[8:9]                 // 0000000068A8: DD488000 00084454
	s_setvskip 0, 0                                            // 0000000068B0: BF108080
	s_setvskip s20, 2                                          // 0000000068B4: BF108214
	global_atomic_pk_add_bf16 v84, v69, s[8:9] offset:256      // 0000000068B8: DD488100 00084554
	s_setvskip 0, 0                                            // 0000000068C0: BF108080
	s_setvskip s20, 3                                          // 0000000068C4: BF108314
	global_atomic_pk_add_bf16 v86, v70, s[8:9]                 // 0000000068C8: DD488000 00084656
	s_setvskip 0, 0                                            // 0000000068D0: BF108080
	s_setvskip s20, 3                                          // 0000000068D4: BF108314
	global_atomic_pk_add_bf16 v86, v71, s[8:9] offset:256      // 0000000068D8: DD488100 00084756
	s_setvskip 0, 0                                            // 0000000068E0: BF108080
	s_add_u32 s8, s59, s8                                      // 0000000068E4: 8008083B
	s_addc_u32 s9, 0, s9                                       // 0000000068E8: 82090980
	s_addk_i32 s80, 0x100                                      // 0000000068EC: B7500100
	s_cmp_lt_i32 s80, s81                                      // 0000000068F0: BF045150
	s_cbranch_scc0 label_093C                                  // 0000000068F4: BF84FA7E
	s_waitcnt vmcnt(13) lgkmcnt(0)                             // 0000000068F8: BF8C007D
	s_barrier                                                  // 0000000068FC: BF8A0000
	v_mfma_f32_16x16x128_f8f6f4 v[112:115], a[32:39], v[96:103], 0// 000000006900: D3AD0070 0A02C120
	buffer_load_dword v21, v6, s[16:19], 0 offen               // 000000006908: E0501000 80041506
	buffer_load_dwordx4 a[0:3], v38, s[12:15], 0 offen         // 000000006910: E05C1000 80830026
	buffer_load_dwordx4 a[4:7], v38, s[12:15], 0 offen offset:1024// 000000006918: E05C1400 80830426
	buffer_load_dwordx4 a[8:11], v39, s[12:15], 0 offen        // 000000006920: E05C1000 80830827
	buffer_load_dwordx4 a[12:15], v39, s[12:15], 0 offen offset:1024// 000000006928: E05C1400 80830C27
	v_mfma_f32_16x16x128_f8f6f4 v[116:119], a[40:47], v[96:103], 0// 000000006930: D3AD0074 0A02C128
	ds_read_b32 v64, v5 offset:17152                           // 000000006938: D86C4300 40000005
	ds_read_b32 v65, v5 offset:21504                           // 000000006940: D86C5400 41000005
	ds_read_b32 v66, v5 offset:17160                           // 000000006948: D86C4308 42000005
	ds_read_b32 v67, v5 offset:21512                           // 000000006950: D86C5408 43000005
	ds_read_b32 v68, v5 offset:17184                           // 000000006958: D86C4320 44000005
	ds_read_b32 v69, v5 offset:21536                           // 000000006960: D86C5420 45000005
	ds_read_b32 v70, v5 offset:17192                           // 000000006968: D86C4328 46000005
	ds_read_b32 v71, v5 offset:21544                           // 000000006970: D86C5428 47000005
	s_waitcnt vmcnt(13)                                        // 000000006978: BF8C0F7D
	v_mfma_f32_16x16x128_f8f6f4 v[120:123], a[48:55], v[96:103], 0// 00000000697C: D3AD0078 0A02C130
	buffer_load_dwordx4 a[16:19], v40, s[12:15], 0 offen       // 000000006984: E05C1000 80831028
	buffer_load_dwordx4 a[20:23], v40, s[12:15], 0 offen offset:1024// 00000000698C: E05C1400 80831428
	buffer_load_dwordx4 a[24:27], v41, s[12:15], 0 offen       // 000000006994: E05C1000 80831829
	buffer_load_dwordx4 a[28:31], v41, s[12:15], 0 offen offset:1024// 00000000699C: E05C1400 80831C29
	v_mfma_f32_16x16x128_f8f6f4 v[124:127], a[56:63], v[96:103], 0// 0000000069A4: D3AD007C 0A02C138
	ds_write_b64 v4, v[128:129] offset:34560                   // 0000000069AC: D89A8700 00008004
	ds_write_b64 v4, v[130:131] offset:36736                   // 0000000069B4: D89A8F80 00008204
	ds_write_b64 v4, v[132:133] offset:38912                   // 0000000069BC: D89A9800 00008404
	ds_write_b64 v4, v[134:135] offset:41088                   // 0000000069C4: D89AA080 00008604
	v_mul_f32_dpp v46, v22, v32 row_newbcast:0 row_mask:0xf bank_mask:0xf// 0000000069CC: 0A5C40FA FF015016
	v_mov_b32_e32 v47, v46                                     // 0000000069D4: 7E5E032E
	v_pk_mul_f32 v[112:113], v[46:47], v[112:113]              // 0000000069D8: D3B14070 1802E12E
	v_pk_mul_f32 v[114:115], v[46:47], v[114:115]              // 0000000069E0: D3B14072 1802E52E
	v_pk_mul_f32 v[116:117], v[46:47], v[116:117]              // 0000000069E8: D3B14074 1802E92E
	v_pk_mul_f32 v[118:119], v[46:47], v[118:119]              // 0000000069F0: D3B14076 1802ED2E
	v_mul_f32_dpp v46, v22, v32 row_newbcast:1 row_mask:0xf bank_mask:0xf// 0000000069F8: 0A5C40FA FF015116
	v_mov_b32_e32 v47, v46                                     // 000000006A00: 7E5E032E
	v_pk_mul_f32 v[120:121], v[46:47], v[120:121]              // 000000006A04: D3B14078 1802F12E
	v_pk_mul_f32 v[122:123], v[46:47], v[122:123]              // 000000006A0C: D3B1407A 1802F52E
	v_pk_mul_f32 v[124:125], v[46:47], v[124:125]              // 000000006A14: D3B1407C 1802F92E
	v_pk_mul_f32 v[126:127], v[46:47], v[126:127]              // 000000006A1C: D3B1407E 1802FD2E
	s_add_u32 s60, 0x300, s80                                  // 000000006A24: 803C50FF 00000300
	s_cmp_lt_u32 s60, s81                                      // 000000006A2C: BF0A513C
	s_cselect_b32 s56, s56, 0                                  // 000000006A30: 85388038
	s_cselect_b32 s78, s78, 0                                  // 000000006A34: 854E804E
	s_cselect_b32 s79, s79, 0                                  // 000000006A38: 854F804F
	s_add_u32 s12, s56, s12                                    // 000000006A3C: 800C0C38
	s_addc_u32 s13, 0, s13                                     // 000000006A40: 820D0D80
	s_add_u32 s16, s79, s16                                    // 000000006A44: 8010104F
	s_addc_u32 s17, 0, s17                                     // 000000006A48: 82111180
	v_mov_b32_e32 v46, v27                                     // 000000006A4C: 7E5C031B
	v_mov_b32_e32 v47, v27                                     // 000000006A50: 7E5E031B
	v_pk_mul_f32 v[112:113], v[46:47], v[112:113]              // 000000006A54: D3B14070 1802E12E
	v_pk_mul_f32 v[114:115], v[46:47], v[114:115]              // 000000006A5C: D3B14072 1802E52E
	v_pk_mul_f32 v[116:117], v[46:47], v[116:117]              // 000000006A64: D3B14074 1802E92E
	v_pk_mul_f32 v[118:119], v[46:47], v[118:119]              // 000000006A6C: D3B14076 1802ED2E
	v_pk_mul_f32 v[120:121], v[46:47], v[120:121]              // 000000006A74: D3B14078 1802F12E
	v_pk_mul_f32 v[122:123], v[46:47], v[122:123]              // 000000006A7C: D3B1407A 1802F52E
	v_pk_mul_f32 v[124:125], v[46:47], v[124:125]              // 000000006A84: D3B1407C 1802F92E
	v_pk_mul_f32 v[126:127], v[46:47], v[126:127]              // 000000006A8C: D3B1407E 1802FD2E
	v_cvt_pk_bf16_f32 v112, v112, v113                         // 000000006A94: D2680070 0002E370
	v_cvt_pk_bf16_f32 v113, v114, v115                         // 000000006A9C: D2680071 0002E772
	v_cvt_pk_bf16_f32 v114, v116, v117                         // 000000006AA4: D2680072 0002EB74
	v_cvt_pk_bf16_f32 v115, v118, v119                         // 000000006AAC: D2680073 0002EF76
	v_cvt_pk_bf16_f32 v116, v120, v121                         // 000000006AB4: D2680074 0002F378
	v_cvt_pk_bf16_f32 v117, v122, v123                         // 000000006ABC: D2680075 0002F77A
	v_cvt_pk_bf16_f32 v118, v124, v125                         // 000000006AC4: D2680076 0002FB7C
	v_cvt_pk_bf16_f32 v119, v126, v127                         // 000000006ACC: D2680077 0002FF7E
	s_cmp_ge_u32 s80, 0x200                                    // 000000006AD4: BF09FF50 00000200
	s_cselect_b32 s59, 0x200, s59                              // 000000006ADC: 853B3BFF 00000200
	s_waitcnt lgkmcnt(0)                                       // 000000006AE4: BF8CC07F
	s_barrier                                                  // 000000006AE8: BF8A0000
	s_setvskip s20, 0                                          // 000000006AEC: BF108014
	global_atomic_pk_add_bf16 v80, v64, s[8:9]                 // 000000006AF0: DD488000 00084050
	s_setvskip 0, 0                                            // 000000006AF8: BF108080
	s_setvskip s20, 0                                          // 000000006AFC: BF108014
	global_atomic_pk_add_bf16 v80, v65, s[8:9] offset:256      // 000000006B00: DD488100 00084150
	s_setvskip 0, 0                                            // 000000006B08: BF108080
	s_setvskip s20, 1                                          // 000000006B0C: BF108114
	global_atomic_pk_add_bf16 v82, v66, s[8:9]                 // 000000006B10: DD488000 00084252
	s_setvskip 0, 0                                            // 000000006B18: BF108080
	s_setvskip s20, 1                                          // 000000006B1C: BF108114
	global_atomic_pk_add_bf16 v82, v67, s[8:9] offset:256      // 000000006B20: DD488100 00084352
	s_setvskip 0, 0                                            // 000000006B28: BF108080
	s_setvskip s20, 2                                          // 000000006B2C: BF108214
	global_atomic_pk_add_bf16 v84, v68, s[8:9]                 // 000000006B30: DD488000 00084454
	s_setvskip 0, 0                                            // 000000006B38: BF108080
	s_setvskip s20, 2                                          // 000000006B3C: BF108214
	global_atomic_pk_add_bf16 v84, v69, s[8:9] offset:256      // 000000006B40: DD488100 00084554
	s_setvskip 0, 0                                            // 000000006B48: BF108080
	s_setvskip s20, 3                                          // 000000006B4C: BF108314
	global_atomic_pk_add_bf16 v86, v70, s[8:9]                 // 000000006B50: DD488000 00084656
	s_setvskip 0, 0                                            // 000000006B58: BF108080
	s_setvskip s20, 3                                          // 000000006B5C: BF108314
	global_atomic_pk_add_bf16 v86, v71, s[8:9] offset:256      // 000000006B60: DD488100 00084756
	s_setvskip 0, 0                                            // 000000006B68: BF108080
	s_add_u32 s8, s59, s8                                      // 000000006B6C: 8008083B
	s_addc_u32 s9, 0, s9                                       // 000000006B70: 82090980
	s_addk_i32 s80, 0x100                                      // 000000006B74: B7500100
	s_cmp_lt_i32 s80, s81                                      // 000000006B78: BF045150
	s_cbranch_scc0 label_093C                                  // 000000006B7C: BF84F9DC
	s_waitcnt vmcnt(13) lgkmcnt(0)                             // 000000006B80: BF8C007D
	s_barrier                                                  // 000000006B84: BF8A0000
	v_mfma_f32_16x16x128_f8f6f4 v[128:131], a[64:71], v[96:103], 0// 000000006B88: D3AD0080 0A02C140
	buffer_load_dword v22, v6, s[16:19], 0 offen               // 000000006B90: E0501000 80041606
	buffer_load_dwordx4 a[32:35], v38, s[12:15], 0 offen       // 000000006B98: E05C1000 80832026
	buffer_load_dwordx4 a[36:39], v38, s[12:15], 0 offen offset:1024// 000000006BA0: E05C1400 80832426
	buffer_load_dwordx4 a[40:43], v39, s[12:15], 0 offen       // 000000006BA8: E05C1000 80832827
	buffer_load_dwordx4 a[44:47], v39, s[12:15], 0 offen offset:1024// 000000006BB0: E05C1400 80832C27
	v_mfma_f32_16x16x128_f8f6f4 v[132:135], a[72:79], v[96:103], 0// 000000006BB8: D3AD0084 0A02C148
	ds_read_b32 v64, v5 offset:34560                           // 000000006BC0: D86C8700 40000005
	ds_read_b32 v65, v5 offset:38912                           // 000000006BC8: D86C9800 41000005
	ds_read_b32 v66, v5 offset:34568                           // 000000006BD0: D86C8708 42000005
	ds_read_b32 v67, v5 offset:38920                           // 000000006BD8: D86C9808 43000005
	ds_read_b32 v68, v5 offset:34592                           // 000000006BE0: D86C8720 44000005
	ds_read_b32 v69, v5 offset:38944                           // 000000006BE8: D86C9820 45000005
	ds_read_b32 v70, v5 offset:34600                           // 000000006BF0: D86C8728 46000005
	ds_read_b32 v71, v5 offset:38952                           // 000000006BF8: D86C9828 47000005
	s_waitcnt vmcnt(13)                                        // 000000006C00: BF8C0F7D
	v_mfma_f32_16x16x128_f8f6f4 v[136:139], a[80:87], v[96:103], 0// 000000006C04: D3AD0088 0A02C150
	buffer_load_dwordx4 a[48:51], v40, s[12:15], 0 offen       // 000000006C0C: E05C1000 80833028
	buffer_load_dwordx4 a[52:55], v40, s[12:15], 0 offen offset:1024// 000000006C14: E05C1400 80833428
	buffer_load_dwordx4 a[56:59], v41, s[12:15], 0 offen       // 000000006C1C: E05C1000 80833829
	buffer_load_dwordx4 a[60:63], v41, s[12:15], 0 offen offset:1024// 000000006C24: E05C1400 80833C29
	v_mfma_f32_16x16x128_f8f6f4 v[140:143], a[88:95], v[96:103], 0// 000000006C2C: D3AD008C 0A02C158
	ds_write_b64 v4, v[112:113] offset:17152                   // 000000006C34: D89A4300 00007004
	ds_write_b64 v4, v[114:115] offset:19328                   // 000000006C3C: D89A4B80 00007204
	ds_write_b64 v4, v[116:117] offset:21504                   // 000000006C44: D89A5400 00007404
	ds_write_b64 v4, v[118:119] offset:23680                   // 000000006C4C: D89A5C80 00007604
	v_mul_f32_dpp v46, v23, v32 row_newbcast:0 row_mask:0xf bank_mask:0xf// 000000006C54: 0A5C40FA FF015017
	v_mov_b32_e32 v47, v46                                     // 000000006C5C: 7E5E032E
	v_pk_mul_f32 v[128:129], v[46:47], v[128:129]              // 000000006C60: D3B14080 1803012E
	v_pk_mul_f32 v[130:131], v[46:47], v[130:131]              // 000000006C68: D3B14082 1803052E
	v_pk_mul_f32 v[132:133], v[46:47], v[132:133]              // 000000006C70: D3B14084 1803092E
	v_pk_mul_f32 v[134:135], v[46:47], v[134:135]              // 000000006C78: D3B14086 18030D2E
	v_mul_f32_dpp v46, v23, v32 row_newbcast:1 row_mask:0xf bank_mask:0xf// 000000006C80: 0A5C40FA FF015117
	v_mov_b32_e32 v47, v46                                     // 000000006C88: 7E5E032E
	v_pk_mul_f32 v[136:137], v[46:47], v[136:137]              // 000000006C8C: D3B14088 1803112E
	v_pk_mul_f32 v[138:139], v[46:47], v[138:139]              // 000000006C94: D3B1408A 1803152E
	v_pk_mul_f32 v[140:141], v[46:47], v[140:141]              // 000000006C9C: D3B1408C 1803192E
	v_pk_mul_f32 v[142:143], v[46:47], v[142:143]              // 000000006CA4: D3B1408E 18031D2E
	s_add_u32 s60, 0x300, s80                                  // 000000006CAC: 803C50FF 00000300
	s_cmp_lt_u32 s60, s81                                      // 000000006CB4: BF0A513C
	s_cselect_b32 s56, s56, 0                                  // 000000006CB8: 85388038
	s_cselect_b32 s78, s78, 0                                  // 000000006CBC: 854E804E
	s_cselect_b32 s79, s79, 0                                  // 000000006CC0: 854F804F
	s_add_u32 s12, s56, s12                                    // 000000006CC4: 800C0C38
	s_addc_u32 s13, 0, s13                                     // 000000006CC8: 820D0D80
	s_add_u32 s16, s79, s16                                    // 000000006CCC: 8010104F
	s_addc_u32 s17, 0, s17                                     // 000000006CD0: 82111180
	v_mov_b32_e32 v46, v27                                     // 000000006CD4: 7E5C031B
	v_mov_b32_e32 v47, v27                                     // 000000006CD8: 7E5E031B
	v_pk_mul_f32 v[128:129], v[46:47], v[128:129]              // 000000006CDC: D3B14080 1803012E
	v_pk_mul_f32 v[130:131], v[46:47], v[130:131]              // 000000006CE4: D3B14082 1803052E
	v_pk_mul_f32 v[132:133], v[46:47], v[132:133]              // 000000006CEC: D3B14084 1803092E
	v_pk_mul_f32 v[134:135], v[46:47], v[134:135]              // 000000006CF4: D3B14086 18030D2E
	v_pk_mul_f32 v[136:137], v[46:47], v[136:137]              // 000000006CFC: D3B14088 1803112E
	v_pk_mul_f32 v[138:139], v[46:47], v[138:139]              // 000000006D04: D3B1408A 1803152E
	v_pk_mul_f32 v[140:141], v[46:47], v[140:141]              // 000000006D0C: D3B1408C 1803192E
	v_pk_mul_f32 v[142:143], v[46:47], v[142:143]              // 000000006D14: D3B1408E 18031D2E
	v_cvt_pk_bf16_f32 v128, v128, v129                         // 000000006D1C: D2680080 00030380
	v_cvt_pk_bf16_f32 v129, v130, v131                         // 000000006D24: D2680081 00030782
	v_cvt_pk_bf16_f32 v130, v132, v133                         // 000000006D2C: D2680082 00030B84
	v_cvt_pk_bf16_f32 v131, v134, v135                         // 000000006D34: D2680083 00030F86
	v_cvt_pk_bf16_f32 v132, v136, v137                         // 000000006D3C: D2680084 00031388
	v_cvt_pk_bf16_f32 v133, v138, v139                         // 000000006D44: D2680085 0003178A
	v_cvt_pk_bf16_f32 v134, v140, v141                         // 000000006D4C: D2680086 00031B8C
	v_cvt_pk_bf16_f32 v135, v142, v143                         // 000000006D54: D2680087 00031F8E
	s_cmp_ge_u32 s80, 0x200                                    // 000000006D5C: BF09FF50 00000200
	s_cselect_b32 s59, 0x200, s59                              // 000000006D64: 853B3BFF 00000200
	s_waitcnt lgkmcnt(0)                                       // 000000006D6C: BF8CC07F
	s_barrier                                                  // 000000006D70: BF8A0000
	s_setvskip s20, 0                                          // 000000006D74: BF108014
	global_atomic_pk_add_bf16 v80, v64, s[8:9]                 // 000000006D78: DD488000 00084050
	s_setvskip 0, 0                                            // 000000006D80: BF108080
	s_setvskip s20, 0                                          // 000000006D84: BF108014
	global_atomic_pk_add_bf16 v80, v65, s[8:9] offset:256      // 000000006D88: DD488100 00084150
	s_setvskip 0, 0                                            // 000000006D90: BF108080
	s_setvskip s20, 1                                          // 000000006D94: BF108114
	global_atomic_pk_add_bf16 v82, v66, s[8:9]                 // 000000006D98: DD488000 00084252
	s_setvskip 0, 0                                            // 000000006DA0: BF108080
	s_setvskip s20, 1                                          // 000000006DA4: BF108114
	global_atomic_pk_add_bf16 v82, v67, s[8:9] offset:256      // 000000006DA8: DD488100 00084352
	s_setvskip 0, 0                                            // 000000006DB0: BF108080
	s_setvskip s20, 2                                          // 000000006DB4: BF108214
	global_atomic_pk_add_bf16 v84, v68, s[8:9]                 // 000000006DB8: DD488000 00084454
	s_setvskip 0, 0                                            // 000000006DC0: BF108080
	s_setvskip s20, 2                                          // 000000006DC4: BF108214
	global_atomic_pk_add_bf16 v84, v69, s[8:9] offset:256      // 000000006DC8: DD488100 00084554
	s_setvskip 0, 0                                            // 000000006DD0: BF108080
	s_setvskip s20, 3                                          // 000000006DD4: BF108314
	global_atomic_pk_add_bf16 v86, v70, s[8:9]                 // 000000006DD8: DD488000 00084656
	s_setvskip 0, 0                                            // 000000006DE0: BF108080
	s_setvskip s20, 3                                          // 000000006DE4: BF108314
	global_atomic_pk_add_bf16 v86, v71, s[8:9] offset:256      // 000000006DE8: DD488100 00084756
	s_setvskip 0, 0                                            // 000000006DF0: BF108080
	s_add_u32 s8, s59, s8                                      // 000000006DF4: 8008083B
	s_addc_u32 s9, 0, s9                                       // 000000006DF8: 82090980
	s_addk_i32 s80, 0x100                                      // 000000006DFC: B7500100
	s_cmp_lt_i32 s80, s81                                      // 000000006E00: BF045150
	s_cbranch_scc0 label_093C                                  // 000000006E04: BF84F93A
	s_branch label_0C36                                        // 000000006E08: BF82FC33

0000000000006e0c <label_1003>:
	s_cmp_ge_u32 s59, 0                                        // 000000006E0C: BF09803B
	s_cselect_b32 s59, 0x200, s59                              // 000000006E10: 853B3BFF 00000200
	s_waitcnt lgkmcnt(0)                                       // 000000006E18: BF8CC07F
	s_barrier                                                  // 000000006E1C: BF8A0000
	s_cmp_eq_u32 s64, 0x100                                    // 000000006E20: BF06FF40 00000100
	s_cbranch_scc0 label_1047                                  // 000000006E28: BF84003C
	ds_write_b64 v4, v[112:113] offset:17152                   // 000000006E2C: D89A4300 00007004
	ds_write_b64 v4, v[114:115] offset:19328                   // 000000006E34: D89A4B80 00007204
	ds_write_b64 v4, v[116:117] offset:21504                   // 000000006E3C: D89A5400 00007404
	ds_write_b64 v4, v[118:119] offset:23680                   // 000000006E44: D89A5C80 00007604
	s_waitcnt lgkmcnt(0)                                       // 000000006E4C: BF8CC07F
	s_barrier                                                  // 000000006E50: BF8A0000
	ds_read_b32 v64, v5 offset:17152                           // 000000006E54: D86C4300 40000005
	ds_read_b32 v65, v5 offset:21504                           // 000000006E5C: D86C5400 41000005
	ds_read_b32 v66, v5 offset:17160                           // 000000006E64: D86C4308 42000005
	ds_read_b32 v67, v5 offset:21512                           // 000000006E6C: D86C5408 43000005
	ds_read_b32 v68, v5 offset:17184                           // 000000006E74: D86C4320 44000005
	ds_read_b32 v69, v5 offset:21536                           // 000000006E7C: D86C5420 45000005
	ds_read_b32 v70, v5 offset:17192                           // 000000006E84: D86C4328 46000005
	ds_read_b32 v71, v5 offset:21544                           // 000000006E8C: D86C5428 47000005
	s_waitcnt lgkmcnt(0)                                       // 000000006E94: BF8CC07F
	s_setvskip s20, 0                                          // 000000006E98: BF108014
	global_atomic_pk_add_bf16 v80, v64, s[8:9]                 // 000000006E9C: DD488000 00084050
	s_setvskip 0, 0                                            // 000000006EA4: BF108080
	s_setvskip s20, 0                                          // 000000006EA8: BF108014
	global_atomic_pk_add_bf16 v80, v65, s[8:9] offset:256      // 000000006EAC: DD488100 00084150
	s_setvskip 0, 0                                            // 000000006EB4: BF108080
	s_setvskip s20, 1                                          // 000000006EB8: BF108114
	global_atomic_pk_add_bf16 v82, v66, s[8:9]                 // 000000006EBC: DD488000 00084252
	s_setvskip 0, 0                                            // 000000006EC4: BF108080
	s_setvskip s20, 1                                          // 000000006EC8: BF108114
	global_atomic_pk_add_bf16 v82, v67, s[8:9] offset:256      // 000000006ECC: DD488100 00084352
	s_setvskip 0, 0                                            // 000000006ED4: BF108080
	s_setvskip s20, 2                                          // 000000006ED8: BF108214
	global_atomic_pk_add_bf16 v84, v68, s[8:9]                 // 000000006EDC: DD488000 00084454
	s_setvskip 0, 0                                            // 000000006EE4: BF108080
	s_setvskip s20, 2                                          // 000000006EE8: BF108214
	global_atomic_pk_add_bf16 v84, v69, s[8:9] offset:256      // 000000006EEC: DD488100 00084554
	s_setvskip 0, 0                                            // 000000006EF4: BF108080
	s_setvskip s20, 3                                          // 000000006EF8: BF108314
	global_atomic_pk_add_bf16 v86, v70, s[8:9]                 // 000000006EFC: DD488000 00084656
	s_setvskip 0, 0                                            // 000000006F04: BF108080
	s_setvskip s20, 3                                          // 000000006F08: BF108314
	global_atomic_pk_add_bf16 v86, v71, s[8:9] offset:256      // 000000006F0C: DD488100 00084756
	s_setvskip 0, 0                                            // 000000006F14: BF108080
	s_branch label_10B5                                        // 000000006F18: BF82006E

0000000000006f1c <label_1047>:
	ds_read_b32 v64, v5 offset:17152                           // 000000006F1C: D86C4300 40000005
	ds_read_b32 v65, v5 offset:21504                           // 000000006F24: D86C5400 41000005
	ds_read_b32 v66, v5 offset:17160                           // 000000006F2C: D86C4308 42000005
	ds_read_b32 v67, v5 offset:21512                           // 000000006F34: D86C5408 43000005
	ds_read_b32 v68, v5 offset:17184                           // 000000006F3C: D86C4320 44000005
	ds_read_b32 v69, v5 offset:21536                           // 000000006F44: D86C5420 45000005
	ds_read_b32 v70, v5 offset:17192                           // 000000006F4C: D86C4328 46000005
	ds_read_b32 v71, v5 offset:21544                           // 000000006F54: D86C5428 47000005
	s_waitcnt lgkmcnt(0)                                       // 000000006F5C: BF8CC07F
	s_setvskip s20, 0                                          // 000000006F60: BF108014
	global_atomic_pk_add_bf16 v80, v64, s[8:9]                 // 000000006F64: DD488000 00084050
	s_setvskip 0, 0                                            // 000000006F6C: BF108080
	s_setvskip s20, 0                                          // 000000006F70: BF108014
	global_atomic_pk_add_bf16 v80, v65, s[8:9] offset:256      // 000000006F74: DD488100 00084150
	s_setvskip 0, 0                                            // 000000006F7C: BF108080
	s_setvskip s20, 1                                          // 000000006F80: BF108114
	global_atomic_pk_add_bf16 v82, v66, s[8:9]                 // 000000006F84: DD488000 00084252
	s_setvskip 0, 0                                            // 000000006F8C: BF108080
	s_setvskip s20, 1                                          // 000000006F90: BF108114
	global_atomic_pk_add_bf16 v82, v67, s[8:9] offset:256      // 000000006F94: DD488100 00084352
	s_setvskip 0, 0                                            // 000000006F9C: BF108080
	s_setvskip s20, 2                                          // 000000006FA0: BF108214
	global_atomic_pk_add_bf16 v84, v68, s[8:9]                 // 000000006FA4: DD488000 00084454
	s_setvskip 0, 0                                            // 000000006FAC: BF108080
	s_setvskip s20, 2                                          // 000000006FB0: BF108214
	global_atomic_pk_add_bf16 v84, v69, s[8:9] offset:256      // 000000006FB4: DD488100 00084554
	s_setvskip 0, 0                                            // 000000006FBC: BF108080
	s_setvskip s20, 3                                          // 000000006FC0: BF108314
	global_atomic_pk_add_bf16 v86, v70, s[8:9]                 // 000000006FC4: DD488000 00084656
	s_setvskip 0, 0                                            // 000000006FCC: BF108080
	s_setvskip s20, 3                                          // 000000006FD0: BF108314
	global_atomic_pk_add_bf16 v86, v71, s[8:9] offset:256      // 000000006FD4: DD488100 00084756
	s_setvskip 0, 0                                            // 000000006FDC: BF108080
	s_add_u32 s8, s59, s8                                      // 000000006FE0: 8008083B
	s_addc_u32 s9, 0, s9                                       // 000000006FE4: 82090980
	ds_write_b64 v4, v[128:129] offset:34560                   // 000000006FE8: D89A8700 00008004
	ds_write_b64 v4, v[130:131] offset:36736                   // 000000006FF0: D89A8F80 00008204
	ds_write_b64 v4, v[132:133] offset:38912                   // 000000006FF8: D89A9800 00008404
	ds_write_b64 v4, v[134:135] offset:41088                   // 000000007000: D89AA080 00008604
	s_waitcnt lgkmcnt(0)                                       // 000000007008: BF8CC07F
	s_barrier                                                  // 00000000700C: BF8A0000
	ds_read_b32 v64, v5 offset:34560                           // 000000007010: D86C8700 40000005
	ds_read_b32 v65, v5 offset:38912                           // 000000007018: D86C9800 41000005
	ds_read_b32 v66, v5 offset:34568                           // 000000007020: D86C8708 42000005
	ds_read_b32 v67, v5 offset:38920                           // 000000007028: D86C9808 43000005
	ds_read_b32 v68, v5 offset:34592                           // 000000007030: D86C8720 44000005
	ds_read_b32 v69, v5 offset:38944                           // 000000007038: D86C9820 45000005
	ds_read_b32 v70, v5 offset:34600                           // 000000007040: D86C8728 46000005
	ds_read_b32 v71, v5 offset:38952                           // 000000007048: D86C9828 47000005
	s_waitcnt lgkmcnt(0)                                       // 000000007050: BF8CC07F
	s_setvskip s20, 0                                          // 000000007054: BF108014
	global_atomic_pk_add_bf16 v80, v64, s[8:9]                 // 000000007058: DD488000 00084050
	s_setvskip 0, 0                                            // 000000007060: BF108080
	s_setvskip s20, 0                                          // 000000007064: BF108014
	global_atomic_pk_add_bf16 v80, v65, s[8:9] offset:256      // 000000007068: DD488100 00084150
	s_setvskip 0, 0                                            // 000000007070: BF108080
	s_setvskip s20, 1                                          // 000000007074: BF108114
	global_atomic_pk_add_bf16 v82, v66, s[8:9]                 // 000000007078: DD488000 00084252
	s_setvskip 0, 0                                            // 000000007080: BF108080
	s_setvskip s20, 1                                          // 000000007084: BF108114
	global_atomic_pk_add_bf16 v82, v67, s[8:9] offset:256      // 000000007088: DD488100 00084352
	s_setvskip 0, 0                                            // 000000007090: BF108080
	s_setvskip s20, 2                                          // 000000007094: BF108214
	global_atomic_pk_add_bf16 v84, v68, s[8:9]                 // 000000007098: DD488000 00084454
	s_setvskip 0, 0                                            // 0000000070A0: BF108080
	s_setvskip s20, 2                                          // 0000000070A4: BF108214
	global_atomic_pk_add_bf16 v84, v69, s[8:9] offset:256      // 0000000070A8: DD488100 00084554
	s_setvskip 0, 0                                            // 0000000070B0: BF108080
	s_setvskip s20, 3                                          // 0000000070B4: BF108314
	global_atomic_pk_add_bf16 v86, v70, s[8:9]                 // 0000000070B8: DD488000 00084656
	s_setvskip 0, 0                                            // 0000000070C0: BF108080
	s_setvskip s20, 3                                          // 0000000070C4: BF108314
	global_atomic_pk_add_bf16 v86, v71, s[8:9] offset:256      // 0000000070C8: DD488100 00084756
	s_setvskip 0, 0                                            // 0000000070D0: BF108080

00000000000070d4 <label_10B5>:
	s_waitcnt vmcnt(0) expcnt(0) lgkmcnt(0)                    // 0000000070D4: BF8C0000
	s_endpgm                                                   // 0000000070D8: BF810000
